;; amdgpu-corpus repo=ROCm/rocFFT kind=compiled arch=gfx1030 opt=O3
	.text
	.amdgcn_target "amdgcn-amd-amdhsa--gfx1030"
	.amdhsa_code_object_version 6
	.protected	fft_rtc_fwd_len17_factors_17_wgs_120_tpt_1_dp_op_CI_CI_sbrc_erc_z_xy_unaligned ; -- Begin function fft_rtc_fwd_len17_factors_17_wgs_120_tpt_1_dp_op_CI_CI_sbrc_erc_z_xy_unaligned
	.globl	fft_rtc_fwd_len17_factors_17_wgs_120_tpt_1_dp_op_CI_CI_sbrc_erc_z_xy_unaligned
	.p2align	8
	.type	fft_rtc_fwd_len17_factors_17_wgs_120_tpt_1_dp_op_CI_CI_sbrc_erc_z_xy_unaligned,@function
fft_rtc_fwd_len17_factors_17_wgs_120_tpt_1_dp_op_CI_CI_sbrc_erc_z_xy_unaligned: ; @fft_rtc_fwd_len17_factors_17_wgs_120_tpt_1_dp_op_CI_CI_sbrc_erc_z_xy_unaligned
; %bb.0:
	s_load_dwordx8 s[8:15], s[4:5], 0x8
	s_waitcnt lgkmcnt(0)
	s_load_dwordx4 s[0:3], s[10:11], 0x8
	s_waitcnt lgkmcnt(0)
	s_add_i32 s1, s0, -1
	s_mul_hi_u32 s1, s1, 0x88888889
	s_lshr_b32 s1, s1, 6
	s_add_i32 s3, s1, 1
	s_mul_i32 s2, s3, s2
	v_cvt_f32_u32_e32 v2, s3
	v_cvt_f32_u32_e32 v1, s2
	s_sub_i32 s10, 0, s2
	v_rcp_iflag_f32_e32 v2, v2
	v_rcp_iflag_f32_e32 v1, v1
	v_mul_f32_e32 v1, 0x4f7ffffe, v1
	v_cvt_u32_f32_e32 v1, v1
	v_readfirstlane_b32 s7, v1
	v_mul_f32_e32 v1, 0x4f7ffffe, v2
	s_mul_i32 s10, s10, s7
	v_cvt_u32_f32_e32 v1, v1
	s_mul_hi_u32 s10, s7, s10
	s_add_i32 s7, s7, s10
	v_readfirstlane_b32 s17, v1
	s_mul_hi_u32 s7, s6, s7
	s_mul_i32 s10, s7, s2
	s_add_i32 s11, s7, 1
	s_sub_i32 s10, s6, s10
	s_sub_i32 s16, s10, s2
	s_cmp_ge_u32 s10, s2
	s_cselect_b32 s7, s11, s7
	s_cselect_b32 s10, s16, s10
	s_add_i32 s11, s7, 1
	s_cmp_ge_u32 s10, s2
	s_cselect_b32 s33, s11, s7
	s_not_b32 s1, s1
	s_mul_i32 s2, s33, s2
	s_mul_i32 s1, s1, s17
	s_sub_i32 s2, s6, s2
	s_mul_hi_u32 s1, s17, s1
	s_load_dword s11, s[12:13], 0x10
	s_add_i32 s1, s17, s1
	s_load_dwordx4 s[16:19], s[12:13], 0x0
	s_mul_hi_u32 s7, s2, s1
	s_mul_hi_u32 s1, s6, s1
	s_mul_i32 s10, s7, s3
	s_mul_i32 s1, s1, s3
	s_sub_i32 s2, s2, s10
	s_add_i32 s10, s7, 1
	s_waitcnt lgkmcnt(0)
	s_sub_i32 s19, s2, s3
	s_cmp_ge_u32 s2, s3
	s_cselect_b32 s7, s10, s7
	s_cselect_b32 s2, s19, s2
	s_add_i32 s10, s7, 1
	s_cmp_ge_u32 s2, s3
	s_cselect_b32 s56, s10, s7
	s_sub_i32 s1, s6, s1
	s_sub_i32 s2, s1, s3
	s_cmp_ge_u32 s1, s3
	s_cselect_b32 s1, s2, s1
	s_sub_i32 s2, s1, s3
	s_cmp_ge_u32 s1, s3
	s_cselect_b32 s1, s2, s1
	s_mul_i32 s2, s56, s11
	s_mulk_i32 s1, 0x78
	s_lshl_b64 s[6:7], s[8:9], 3
	s_mul_i32 s3, s1, s18
	s_add_i32 s10, s3, s2
	s_add_u32 s2, s12, s6
	s_addc_u32 s3, s13, s7
	s_load_dwordx2 s[8:9], s[2:3], 0x0
	s_load_dwordx2 s[12:13], s[4:5], 0x58
	;; [unrolled: 1-line block ×3, first 2 shown]
	s_waitcnt lgkmcnt(0)
	s_mul_i32 s3, s9, s33
	s_mul_hi_u32 s9, s8, s33
	s_mul_i32 s8, s8, s33
	s_add_i32 s9, s9, s3
	s_add_u32 s20, s8, s10
	s_addc_u32 s21, s9, 0
	s_add_u32 s6, s14, s6
	s_addc_u32 s7, s15, s7
	s_clause 0x1
	s_load_dwordx4 s[8:11], s[14:15], 0x0
	s_load_dwordx2 s[6:7], s[6:7], 0x0
	s_add_i32 s3, s1, 0x78
	s_waitcnt lgkmcnt(0)
	s_mov_b32 s11, -1
	s_cmp_le_u32 s3, s0
	s_cselect_b32 s3, -1, 0
	s_and_b32 vcc_lo, exec_lo, s3
	s_cbranch_vccz .LBB0_2
; %bb.1:
	v_mul_u32_u24_e32 v1, 0xf10, v0
	v_add_nc_u16 v2, v0, 0x78
	v_mov_b32_e32 v35, 0xf10
	v_add_nc_u16 v3, v0, 0xf0
	v_add_nc_u16 v11, v0, 0x168
	v_lshrrev_b32_e32 v27, 16, v1
	v_mov_b32_e32 v26, 0
	v_mul_u32_u24_sdwa v1, v2, v35 dst_sel:DWORD dst_unused:UNUSED_PAD src0_sel:WORD_0 src1_sel:DWORD
	v_mul_u32_u24_sdwa v4, v3, v35 dst_sel:DWORD dst_unused:UNUSED_PAD src0_sel:WORD_0 src1_sel:DWORD
	s_lshl_b64 s[14:15], s[20:21], 4
	v_mul_lo_u16 v5, v27, 17
	v_mul_lo_u32 v25, s18, v27
	v_lshrrev_b32_e32 v29, 16, v1
	v_lshrrev_b32_e32 v28, 16, v4
	v_mul_u32_u24_sdwa v4, v11, v35 dst_sel:DWORD dst_unused:UNUSED_PAD src0_sel:WORD_0 src1_sel:DWORD
	v_sub_nc_u16 v1, v0, v5
	s_add_u32 s11, s12, s14
	v_mul_lo_u16 v5, v29, 17
	v_mul_lo_u16 v6, v28, 17
	v_lshrrev_b32_e32 v30, 16, v4
	v_and_b32_e32 v31, 0xffff, v1
	s_addc_u32 s14, s13, s15
	v_sub_nc_u16 v4, v2, v5
	v_sub_nc_u16 v5, v3, v6
	v_mul_lo_u16 v12, v30, 17
	v_mad_u64_u32 v[1:2], null, s16, v31, 0
	v_and_b32_e32 v33, 0xffff, v4
	v_lshlrev_b64 v[3:4], 4, v[25:26]
	v_and_b32_e32 v32, 0xffff, v5
	v_sub_nc_u16 v14, v11, v12
	v_mul_lo_u32 v25, s18, v29
	v_mad_u64_u32 v[5:6], null, s16, v33, 0
	v_mad_u64_u32 v[9:10], null, s17, v31, v[2:3]
	;; [unrolled: 1-line block ×3, first 2 shown]
	v_add_nc_u16 v15, v0, 0x1e0
	v_lshlrev_b64 v[10:11], 4, v[25:26]
	v_mov_b32_e32 v2, v6
	v_add_nc_u16 v16, v0, 0x258
	v_mul_lo_u32 v25, s18, v28
	v_and_b32_e32 v34, 0xffff, v14
	v_mov_b32_e32 v6, v8
	v_mad_u64_u32 v[12:13], null, s17, v33, v[2:3]
	v_mov_b32_e32 v2, v9
	v_add_nc_u16 v17, v0, 0x2d0
	v_mad_u64_u32 v[8:9], null, s17, v32, v[6:7]
	v_mul_u32_u24_sdwa v19, v16, v35 dst_sel:DWORD dst_unused:UNUSED_PAD src0_sel:WORD_0 src1_sel:DWORD
	v_lshlrev_b64 v[1:2], 4, v[1:2]
	v_mov_b32_e32 v6, v12
	v_mul_u32_u24_sdwa v20, v17, v35 dst_sel:DWORD dst_unused:UNUSED_PAD src0_sel:WORD_0 src1_sel:DWORD
	v_lshlrev_b64 v[13:14], 4, v[25:26]
	v_lshrrev_b32_e32 v36, 16, v19
	v_mul_lo_u32 v25, s18, v30
	v_add_co_u32 v9, vcc_lo, s11, v1
	v_add_co_ci_u32_e32 v12, vcc_lo, s14, v2, vcc_lo
	v_lshlrev_b64 v[1:2], 4, v[5:6]
	v_add_co_u32 v3, vcc_lo, v9, v3
	v_add_co_ci_u32_e32 v4, vcc_lo, v12, v4, vcc_lo
	v_lshrrev_b32_e32 v37, 16, v20
	v_add_co_u32 v5, vcc_lo, s11, v1
	v_add_co_ci_u32_e32 v6, vcc_lo, s14, v2, vcc_lo
	v_lshlrev_b64 v[1:2], 4, v[7:8]
	v_add_co_u32 v5, vcc_lo, v5, v10
	v_add_co_ci_u32_e32 v6, vcc_lo, v6, v11, vcc_lo
	v_mul_u32_u24_sdwa v11, v15, v35 dst_sel:DWORD dst_unused:UNUSED_PAD src0_sel:WORD_0 src1_sel:DWORD
	v_mad_u64_u32 v[9:10], null, s16, v34, 0
	v_add_co_u32 v12, vcc_lo, s11, v1
	v_lshrrev_b32_e32 v38, 16, v11
	v_add_co_ci_u32_e32 v18, vcc_lo, s14, v2, vcc_lo
	v_mul_lo_u16 v20, v36, 17
	v_mad_u64_u32 v[10:11], null, s17, v34, v[10:11]
	v_mul_lo_u16 v19, v38, 17
	v_add_co_u32 v11, vcc_lo, v12, v13
	v_mul_lo_u16 v21, v37, 17
	v_add_co_ci_u32_e32 v12, vcc_lo, v18, v14, vcc_lo
	v_sub_nc_u16 v13, v15, v19
	v_sub_nc_u16 v14, v16, v20
	;; [unrolled: 1-line block ×3, first 2 shown]
	v_lshlrev_b64 v[9:10], 4, v[9:10]
	s_clause 0x1
	global_load_dwordx4 v[1:4], v[3:4], off
	global_load_dwordx4 v[5:8], v[5:6], off
	v_and_b32_e32 v41, 0xffff, v13
	v_and_b32_e32 v39, 0xffff, v14
	;; [unrolled: 1-line block ×3, first 2 shown]
	v_lshlrev_b64 v[13:14], 4, v[25:26]
	v_add_co_u32 v24, vcc_lo, s11, v9
	v_mad_u64_u32 v[17:18], null, s16, v41, 0
	v_mad_u64_u32 v[19:20], null, s16, v39, 0
	;; [unrolled: 1-line block ×3, first 2 shown]
	v_add_co_ci_u32_e32 v42, vcc_lo, s14, v10, vcc_lo
	v_mov_b32_e32 v9, v18
	v_mul_lo_u32 v25, s18, v38
	v_mov_b32_e32 v10, v20
	v_add_nc_u16 v50, v0, 0x690
	v_mov_b32_e32 v15, v22
	v_add_nc_u16 v51, v0, 0x708
	v_mad_u64_u32 v[22:23], null, s17, v41, v[9:10]
	v_mad_u64_u32 v[9:10], null, s17, v39, v[10:11]
	;; [unrolled: 1-line block ×3, first 2 shown]
	v_add_co_u32 v23, vcc_lo, v24, v13
	v_mov_b32_e32 v18, v22
	v_add_co_ci_u32_e32 v24, vcc_lo, v42, v14, vcc_lo
	v_lshlrev_b64 v[42:43], 4, v[25:26]
	v_mul_lo_u32 v25, s18, v36
	v_mov_b32_e32 v20, v9
	v_lshlrev_b64 v[17:18], 4, v[17:18]
	v_mov_b32_e32 v22, v15
	s_clause 0x1
	global_load_dwordx4 v[13:16], v[11:12], off
	global_load_dwordx4 v[9:12], v[23:24], off
	v_mul_u32_u24_sdwa v59, v50, v35 dst_sel:DWORD dst_unused:UNUSED_PAD src0_sel:WORD_0 src1_sel:DWORD
	v_lshlrev_b64 v[19:20], 4, v[19:20]
	v_lshlrev_b64 v[23:24], 4, v[25:26]
	v_mul_lo_u32 v25, s18, v37
	v_lshlrev_b64 v[21:22], 4, v[21:22]
	v_add_co_u32 v44, vcc_lo, s11, v17
	v_add_co_ci_u32_e32 v45, vcc_lo, s14, v18, vcc_lo
	v_add_co_u32 v46, vcc_lo, s11, v19
	v_add_co_ci_u32_e32 v47, vcc_lo, s14, v20, vcc_lo
	v_add_co_u32 v48, vcc_lo, s11, v21
	v_lshlrev_b64 v[17:18], 4, v[25:26]
	v_add_nc_u16 v25, v0, 0x348
	v_add_co_ci_u32_e32 v49, vcc_lo, s14, v22, vcc_lo
	v_add_co_u32 v19, vcc_lo, v44, v42
	v_add_co_ci_u32_e32 v20, vcc_lo, v45, v43, vcc_lo
	v_add_co_u32 v21, vcc_lo, v46, v23
	v_add_nc_u16 v46, v0, 0x4b0
	v_mul_u32_u24_sdwa v52, v25, v35 dst_sel:DWORD dst_unused:UNUSED_PAD src0_sel:WORD_0 src1_sel:DWORD
	v_add_nc_u16 v44, v0, 0x3c0
	v_add_nc_u16 v45, v0, 0x438
	v_add_co_ci_u32_e32 v22, vcc_lo, v47, v24, vcc_lo
	v_mul_u32_u24_sdwa v55, v46, v35 dst_sel:DWORD dst_unused:UNUSED_PAD src0_sel:WORD_0 src1_sel:DWORD
	v_lshrrev_b32_e32 v86, 16, v52
	v_mul_u32_u24_sdwa v53, v44, v35 dst_sel:DWORD dst_unused:UNUSED_PAD src0_sel:WORD_0 src1_sel:DWORD
	v_mul_u32_u24_sdwa v54, v45, v35 dst_sel:DWORD dst_unused:UNUSED_PAD src0_sel:WORD_0 src1_sel:DWORD
	v_add_nc_u16 v47, v0, 0x528
	v_lshrrev_b32_e32 v89, 16, v55
	v_mul_lo_u16 v52, v86, 17
	v_add_co_u32 v42, vcc_lo, v48, v17
	v_lshrrev_b32_e32 v87, 16, v53
	v_lshrrev_b32_e32 v88, 16, v54
	v_add_co_ci_u32_e32 v43, vcc_lo, v49, v18, vcc_lo
	v_add_nc_u16 v49, v0, 0x618
	v_mul_u32_u24_sdwa v56, v47, v35 dst_sel:DWORD dst_unused:UNUSED_PAD src0_sel:WORD_0 src1_sel:DWORD
	v_add_nc_u16 v48, v0, 0x5a0
	v_sub_nc_u16 v25, v25, v52
	v_mul_lo_u16 v52, v89, 17
	v_or_b32_e32 v55, 0x780, v0
	v_mul_lo_u16 v53, v87, 17
	v_mul_lo_u16 v54, v88, 17
	v_mul_u32_u24_sdwa v58, v49, v35 dst_sel:DWORD dst_unused:UNUSED_PAD src0_sel:WORD_0 src1_sel:DWORD
	v_lshrrev_b32_e32 v90, 16, v56
	v_mul_u32_u24_sdwa v57, v48, v35 dst_sel:DWORD dst_unused:UNUSED_PAD src0_sel:WORD_0 src1_sel:DWORD
	v_sub_nc_u16 v52, v46, v52
	v_mul_u32_u24_sdwa v46, v51, v35 dst_sel:DWORD dst_unused:UNUSED_PAD src0_sel:WORD_0 src1_sel:DWORD
	v_mul_u32_u24_sdwa v35, v55, v35 dst_sel:DWORD dst_unused:UNUSED_PAD src0_sel:WORD_0 src1_sel:DWORD
	v_sub_nc_u16 v44, v44, v53
	v_sub_nc_u16 v45, v45, v54
	v_and_b32_e32 v96, 0xffff, v25
	v_lshrrev_b32_e32 v92, 16, v58
	v_mul_lo_u16 v53, v90, 17
	v_lshrrev_b32_e32 v95, 16, v35
	v_lshrrev_b32_e32 v91, 16, v57
	v_and_b32_e32 v97, 0xffff, v44
	v_and_b32_e32 v98, 0xffff, v45
	v_mad_u64_u32 v[44:45], null, s16, v96, 0
	v_sub_nc_u16 v53, v47, v53
	v_mul_lo_u16 v47, v92, 17
	v_mul_lo_u16 v25, v95, 17
	;; [unrolled: 1-line block ×3, first 2 shown]
	v_lshrrev_b32_e32 v94, 16, v46
	v_lshrrev_b32_e32 v93, 16, v59
	v_sub_nc_u16 v59, v49, v47
	v_mad_u64_u32 v[46:47], null, s16, v97, 0
	v_sub_nc_u16 v65, v55, v25
	v_mov_b32_e32 v25, v45
	v_sub_nc_u16 v58, v48, v54
	v_mul_lo_u16 v35, v94, 17
	v_mad_u64_u32 v[48:49], null, s16, v98, 0
	v_and_b32_e32 v100, 0xffff, v53
	v_and_b32_e32 v99, 0xffff, v52
	v_mad_u64_u32 v[52:53], null, s17, v96, v[25:26]
	v_mul_lo_u16 v56, v93, 17
	v_sub_nc_u16 v63, v51, v35
	v_mov_b32_e32 v35, v47
	v_mad_u64_u32 v[53:54], null, s16, v100, 0
	v_mov_b32_e32 v25, v49
	v_sub_nc_u16 v60, v50, v56
	v_mad_u64_u32 v[55:56], null, s17, v97, v[35:36]
	v_mad_u64_u32 v[50:51], null, s16, v99, 0
	;; [unrolled: 1-line block ×3, first 2 shown]
	v_mov_b32_e32 v25, v54
	v_mov_b32_e32 v45, v52
	;; [unrolled: 1-line block ×3, first 2 shown]
	v_and_b32_e32 v102, 0xffff, v59
	v_mov_b32_e32 v35, v51
	v_mad_u64_u32 v[54:55], null, s17, v100, v[25:26]
	v_mul_lo_u32 v25, s18, v86
	v_and_b32_e32 v103, 0xffff, v60
	v_lshlrev_b64 v[44:45], 4, v[44:45]
	v_mov_b32_e32 v49, v56
	v_lshlrev_b64 v[46:47], 4, v[46:47]
	v_mad_u64_u32 v[51:52], null, s17, v99, v[35:36]
	v_lshlrev_b64 v[52:53], 4, v[53:54]
	v_lshlrev_b64 v[59:60], 4, v[25:26]
	v_mul_lo_u32 v25, s18, v87
	v_add_co_u32 v35, vcc_lo, s11, v44
	v_lshlrev_b64 v[48:49], 4, v[48:49]
	v_add_co_ci_u32_e32 v54, vcc_lo, s14, v45, vcc_lo
	v_add_co_u32 v61, vcc_lo, s11, v46
	v_lshlrev_b64 v[44:45], 4, v[25:26]
	v_mul_lo_u32 v25, s18, v88
	v_add_co_ci_u32_e32 v62, vcc_lo, s14, v47, vcc_lo
	v_lshlrev_b64 v[50:51], 4, v[50:51]
	v_add_co_u32 v64, vcc_lo, s11, v48
	v_add_co_ci_u32_e32 v66, vcc_lo, s14, v49, vcc_lo
	v_add_co_u32 v46, vcc_lo, v35, v59
	v_lshlrev_b64 v[48:49], 4, v[25:26]
	v_mul_lo_u32 v25, s18, v89
	v_add_co_ci_u32_e32 v47, vcc_lo, v54, v60, vcc_lo
	v_and_b32_e32 v101, 0xffff, v58
	v_add_co_u32 v54, vcc_lo, s11, v50
	v_add_co_ci_u32_e32 v67, vcc_lo, s14, v51, vcc_lo
	v_add_co_u32 v50, vcc_lo, v61, v44
	v_mad_u64_u32 v[55:56], null, s16, v101, 0
	v_add_co_ci_u32_e32 v51, vcc_lo, v62, v45, vcc_lo
	v_lshlrev_b64 v[44:45], 4, v[25:26]
	v_mul_lo_u32 v25, s18, v90
	v_add_co_u32 v68, vcc_lo, s11, v52
	v_mad_u64_u32 v[57:58], null, s16, v102, 0
	v_add_co_ci_u32_e32 v69, vcc_lo, s14, v53, vcc_lo
	v_add_co_u32 v59, vcc_lo, v64, v48
	v_add_co_ci_u32_e32 v60, vcc_lo, v66, v49, vcc_lo
	v_lshlrev_b64 v[48:49], 4, v[25:26]
	v_mov_b32_e32 v25, v56
	v_mad_u64_u32 v[70:71], null, s16, v103, 0
	v_mov_b32_e32 v35, v58
	v_add_co_u32 v61, vcc_lo, v54, v44
	v_mad_u64_u32 v[52:53], null, s17, v101, v[25:26]
	v_add_co_ci_u32_e32 v62, vcc_lo, v67, v45, vcc_lo
	v_mov_b32_e32 v25, v71
	v_mad_u64_u32 v[44:45], null, s17, v102, v[35:36]
	v_and_b32_e32 v104, 0xffff, v63
	v_mov_b32_e32 v56, v52
	v_mad_u64_u32 v[52:53], null, s17, v103, v[25:26]
	v_mul_lo_u32 v25, s18, v91
	v_mad_u64_u32 v[72:73], null, s16, v104, 0
	v_mov_b32_e32 v58, v44
	v_lshlrev_b64 v[44:45], 4, v[55:56]
	v_add_co_u32 v63, vcc_lo, v68, v48
	v_and_b32_e32 v105, 0xffff, v65
	v_lshlrev_b64 v[66:67], 4, v[25:26]
	v_mul_lo_u32 v25, s18, v92
	v_add_co_ci_u32_e32 v64, vcc_lo, v69, v49, vcc_lo
	v_lshlrev_b64 v[48:49], 4, v[57:58]
	v_mov_b32_e32 v35, v73
	v_add_co_u32 v73, vcc_lo, s11, v44
	v_mad_u64_u32 v[74:75], null, s16, v105, 0
	v_add_co_ci_u32_e32 v78, vcc_lo, s14, v45, vcc_lo
	v_add_co_u32 v79, vcc_lo, s11, v48
	v_lshlrev_b64 v[68:69], 4, v[25:26]
	v_mul_lo_u32 v25, s18, v93
	v_mov_b32_e32 v71, v52
	v_add_co_ci_u32_e32 v80, vcc_lo, s14, v49, vcc_lo
	v_mad_u64_u32 v[76:77], null, s17, v104, v[35:36]
	v_add_co_u32 v66, vcc_lo, v73, v66
	v_add_co_ci_u32_e32 v67, vcc_lo, v78, v67, vcc_lo
	v_mov_b32_e32 v35, v75
	v_add_co_u32 v77, vcc_lo, v79, v68
	v_lshlrev_b64 v[70:71], 4, v[70:71]
	v_add_co_ci_u32_e32 v78, vcc_lo, v80, v69, vcc_lo
	v_lshlrev_b64 v[79:80], 4, v[25:26]
	v_mul_lo_u32 v25, s18, v94
	v_mov_b32_e32 v73, v76
	v_mad_u64_u32 v[75:76], null, s17, v105, v[35:36]
	v_add_co_u32 v35, vcc_lo, s11, v70
	s_clause 0x1
	global_load_dwordx4 v[17:20], v[19:20], off
	global_load_dwordx4 v[21:24], v[21:22], off
	v_add_co_ci_u32_e32 v76, vcc_lo, s14, v71, vcc_lo
	v_lshlrev_b64 v[70:71], 4, v[72:73]
	v_lshlrev_b64 v[72:73], 4, v[25:26]
	v_mul_lo_u32 v25, s18, v95
	v_add_co_u32 v79, vcc_lo, v35, v79
	v_lshlrev_b64 v[74:75], 4, v[74:75]
	s_clause 0x5
	global_load_dwordx4 v[42:45], v[42:43], off
	global_load_dwordx4 v[46:49], v[46:47], off
	;; [unrolled: 1-line block ×6, first 2 shown]
	v_add_co_ci_u32_e32 v80, vcc_lo, v76, v80, vcc_lo
	v_add_co_u32 v35, vcc_lo, s11, v70
	v_add_co_ci_u32_e32 v70, vcc_lo, s14, v71, vcc_lo
	v_add_co_u32 v71, vcc_lo, s11, v74
	v_lshlrev_b64 v[25:26], 4, v[25:26]
	v_add_co_ci_u32_e32 v74, vcc_lo, s14, v75, vcc_lo
	v_add_co_u32 v81, vcc_lo, v35, v72
	global_load_dwordx4 v[66:69], v[66:67], off
	v_add_co_ci_u32_e32 v82, vcc_lo, v70, v73, vcc_lo
	v_add_co_u32 v25, vcc_lo, v71, v25
	v_add_co_ci_u32_e32 v26, vcc_lo, v74, v26, vcc_lo
	s_clause 0x3
	global_load_dwordx4 v[70:73], v[77:78], off
	global_load_dwordx4 v[74:77], v[79:80], off
	;; [unrolled: 1-line block ×4, first 2 shown]
	v_mul_u32_u24_e32 v25, 0x120, v27
	v_lshlrev_b32_e32 v26, 4, v31
	v_mul_u32_u24_e32 v27, 0x120, v29
	v_lshlrev_b32_e32 v29, 4, v33
	s_mov_b32 s11, 0
	v_add3_u32 v25, 0, v25, v26
	v_mul_u32_u24_e32 v26, 0x120, v28
	v_add3_u32 v27, 0, v27, v29
	v_lshlrev_b32_e32 v29, 4, v32
	v_mul_u32_u24_e32 v28, 0x120, v30
	v_lshlrev_b32_e32 v30, 4, v34
	s_waitcnt vmcnt(16)
	ds_write_b128 v25, v[1:4]
	s_waitcnt vmcnt(15)
	ds_write_b128 v27, v[5:8]
	v_add3_u32 v1, 0, v26, v29
	v_mul_u32_u24_e32 v3, 0x120, v38
	v_lshlrev_b32_e32 v4, 4, v41
	v_mul_u32_u24_e32 v5, 0x120, v36
	v_mul_u32_u24_e32 v6, 0x120, v37
	v_lshlrev_b32_e32 v7, 4, v39
	v_lshlrev_b32_e32 v8, 4, v40
	v_add3_u32 v2, 0, v28, v30
	s_waitcnt vmcnt(14)
	ds_write_b128 v1, v[13:16]
	v_add3_u32 v1, 0, v3, v4
	v_mul_u32_u24_e32 v3, 0x120, v86
	v_add3_u32 v4, 0, v5, v7
	v_add3_u32 v5, 0, v6, v8
	v_lshlrev_b32_e32 v6, 4, v96
	v_lshlrev_b32_e32 v7, 4, v99
	v_mul_u32_u24_e32 v8, 0x120, v90
	s_waitcnt vmcnt(13)
	ds_write_b128 v2, v[9:12]
	s_waitcnt vmcnt(12)
	ds_write_b128 v1, v[17:20]
	;; [unrolled: 2-line block ×4, first 2 shown]
	v_add3_u32 v1, 0, v3, v6
	v_mul_u32_u24_e32 v2, 0x120, v87
	v_lshlrev_b32_e32 v3, 4, v97
	v_mul_u32_u24_e32 v4, 0x120, v88
	v_lshlrev_b32_e32 v5, 4, v98
	;; [unrolled: 2-line block ×3, first 2 shown]
	s_waitcnt vmcnt(9)
	ds_write_b128 v1, v[46:49]
	v_add3_u32 v1, 0, v2, v3
	v_add3_u32 v2, 0, v4, v5
	;; [unrolled: 1-line block ×3, first 2 shown]
	v_mul_u32_u24_e32 v5, 0x120, v91
	v_lshlrev_b32_e32 v6, 4, v101
	v_add3_u32 v4, 0, v8, v9
	s_waitcnt vmcnt(8)
	ds_write_b128 v1, v[50:53]
	s_waitcnt vmcnt(7)
	ds_write_b128 v2, v[54:57]
	;; [unrolled: 2-line block ×4, first 2 shown]
	v_mul_u32_u24_e32 v2, 0x120, v92
	v_add3_u32 v1, 0, v5, v6
	v_lshlrev_b32_e32 v3, 4, v102
	v_mul_u32_u24_e32 v8, 0x120, v95
	v_lshlrev_b32_e32 v9, 4, v105
	v_mul_u32_u24_e32 v4, 0x120, v93
	;; [unrolled: 2-line block ×3, first 2 shown]
	v_lshlrev_b32_e32 v7, 4, v104
	v_add3_u32 v2, 0, v2, v3
	s_waitcnt vmcnt(4)
	ds_write_b128 v1, v[66:69]
	v_add3_u32 v1, 0, v8, v9
	v_add3_u32 v3, 0, v4, v5
	;; [unrolled: 1-line block ×3, first 2 shown]
	s_waitcnt vmcnt(3)
	ds_write_b128 v2, v[70:73]
	s_waitcnt vmcnt(2)
	ds_write_b128 v3, v[74:77]
	s_waitcnt vmcnt(1)
	ds_write_b128 v4, v[78:81]
	s_waitcnt vmcnt(0)
	ds_write_b128 v1, v[82:85]
.LBB0_2:
	s_load_dwordx2 s[4:5], s[4:5], 0x60
	s_andn2_b32 vcc_lo, exec_lo, s11
	s_cbranch_vccnz .LBB0_6
; %bb.3:
	s_lshl_b64 s[14:15], s[20:21], 4
	v_mov_b32_e32 v2, 0
	v_mov_b32_e32 v3, 0xf0f1
	;; [unrolled: 1-line block ×3, first 2 shown]
	s_add_u32 s11, s12, s14
	s_addc_u32 s13, s13, s15
	s_mov_b32 s12, 0
	s_inst_prefetch 0x1
	.p2align	6
.LBB0_4:                                ; =>This Inner Loop Header: Depth=1
	v_mul_u32_u24_sdwa v1, v4, v3 dst_sel:DWORD dst_unused:UNUSED_PAD src0_sel:WORD_0 src1_sel:DWORD
	v_lshrrev_b32_e32 v9, 20, v1
	v_mul_lo_u16 v1, v9, 17
	v_sub_nc_u16 v1, v4, v1
	v_add_nc_u32_e32 v4, 0x78, v4
	v_and_b32_e32 v10, 0xffff, v1
	v_mad_u64_u32 v[5:6], null, s16, v10, 0
	v_mov_b32_e32 v1, v6
	v_mad_u64_u32 v[6:7], null, s17, v10, v[1:2]
	v_mul_lo_u32 v1, v9, s18
	v_lshlrev_b64 v[5:6], 4, v[5:6]
	v_lshlrev_b64 v[7:8], 4, v[1:2]
	v_add_co_u32 v1, vcc_lo, s11, v5
	v_add_co_ci_u32_e32 v6, vcc_lo, s13, v6, vcc_lo
	v_add_co_u32 v5, vcc_lo, v1, v7
	v_add_co_ci_u32_e32 v6, vcc_lo, v6, v8, vcc_lo
	v_mul_u32_u24_e32 v1, 0x120, v9
	v_lshlrev_b32_e32 v9, 4, v10
	v_cmp_lt_u32_e32 vcc_lo, 0x7f7, v4
	global_load_dwordx4 v[5:8], v[5:6], off
	v_add3_u32 v1, 0, v1, v9
	s_or_b32 s12, vcc_lo, s12
	s_waitcnt vmcnt(0)
	ds_write_b128 v1, v[5:8]
	s_andn2_b32 exec_lo, exec_lo, s12
	s_cbranch_execnz .LBB0_4
; %bb.5:
	s_inst_prefetch 0x2
	s_or_b32 exec_lo, exec_lo, s12
.LBB0_6:
	v_add_nc_u32_e32 v1, s1, v0
	s_waitcnt lgkmcnt(0)
	s_barrier
	buffer_gl0_inv
	s_mov_b32 s30, 0x5d8e7cdc
	v_mul_hi_u32 v2, 0x88888889, v1
	s_mov_b32 s31, 0xbfd71e95
	s_mov_b32 s24, 0x370991
	;; [unrolled: 1-line block ×7, first 2 shown]
	v_lshrrev_b32_e32 v2, 6, v2
	s_mov_b32 s17, 0x3fe7a5f6
	s_mov_b32 s45, 0xbfeca52d
	;; [unrolled: 1-line block ×4, first 2 shown]
	v_mul_lo_u32 v2, 0x78, v2
	s_mov_b32 s13, 0x3fdc86fa
	s_mov_b32 s39, 0xbfefdd0d
	;; [unrolled: 1-line block ×7, first 2 shown]
	v_sub_nc_u32_e32 v1, v1, v2
	s_mov_b32 s42, 0x4363dd80
	s_mov_b32 s28, 0xacd6c6b4
	;; [unrolled: 1-line block ×4, first 2 shown]
	v_mad_u32_u24 v113, 0x120, v1, 0
	s_mov_b32 s43, 0xbfe0d888
	s_mov_b32 s29, 0xbfc7851a
	s_mov_b32 s19, 0xbfd183b1
	s_mov_b32 s20, 0x6ed5f1bb
	ds_read_b128 v[1:4], v113
	ds_read_b128 v[17:20], v113 offset:16
	ds_read_b128 v[29:32], v113 offset:32
	;; [unrolled: 1-line block ×3, first 2 shown]
	s_mov_b32 s40, 0x910ea3b9
	s_mov_b32 s34, 0x7faef3
	;; [unrolled: 1-line block ×15, first 2 shown]
	s_mul_i32 s11, s9, s1
	s_mul_i32 s56, s56, s10
	s_mul_i32 s7, s7, s33
	s_waitcnt lgkmcnt(2)
	v_add_f64 v[5:6], v[1:2], v[17:18]
	v_add_f64 v[7:8], v[3:4], v[19:20]
	s_mov_b32 s10, 0
	s_waitcnt lgkmcnt(1)
	v_add_f64 v[5:6], v[5:6], v[29:30]
	v_add_f64 v[7:8], v[7:8], v[31:32]
	s_waitcnt lgkmcnt(0)
	v_add_f64 v[21:22], v[5:6], v[13:14]
	v_add_f64 v[23:24], v[7:8], v[15:16]
	ds_read_b128 v[5:8], v113 offset:64
	ds_read_b128 v[9:12], v113 offset:80
	s_waitcnt lgkmcnt(1)
	v_add_f64 v[21:22], v[21:22], v[5:6]
	v_add_f64 v[23:24], v[23:24], v[7:8]
	s_waitcnt lgkmcnt(0)
	v_add_f64 v[25:26], v[21:22], v[9:10]
	v_add_f64 v[27:28], v[23:24], v[11:12]
	ds_read_b128 v[21:24], v113 offset:96
	ds_read_b128 v[33:36], v113 offset:112
	;; [unrolled: 8-line block ×3, first 2 shown]
	ds_read_b128 v[53:56], v113 offset:144
	ds_read_b128 v[85:88], v113 offset:224
	;; [unrolled: 1-line block ×4, first 2 shown]
	s_waitcnt lgkmcnt(4)
	v_add_f64 v[101:102], v[19:20], -v[83:84]
	v_add_f64 v[37:38], v[37:38], v[25:26]
	v_add_f64 v[39:40], v[39:40], v[27:28]
	v_add_f64 v[103:104], v[17:18], -v[81:82]
	v_add_f64 v[105:106], v[17:18], v[81:82]
	s_waitcnt lgkmcnt(1)
	v_add_f64 v[45:46], v[29:30], -v[89:90]
	v_add_f64 v[59:60], v[31:32], -v[91:92]
	v_add_f64 v[107:108], v[19:20], v[83:84]
	ds_read_b128 v[17:20], v113 offset:176
	v_add_f64 v[47:48], v[13:14], -v[85:86]
	v_add_f64 v[51:52], v[15:16], -v[87:88]
	v_add_f64 v[49:50], v[29:30], v[89:90]
	v_add_f64 v[29:30], v[31:32], v[91:92]
	ds_read_b128 v[93:96], v113 offset:192
	ds_read_b128 v[97:100], v113 offset:208
	v_add_f64 v[77:78], v[13:14], v[85:86]
	v_add_f64 v[73:74], v[15:16], v[87:88]
	s_waitcnt lgkmcnt(0)
	s_barrier
	buffer_gl0_inv
	v_mul_f64 v[65:66], v[101:102], s[30:31]
	v_add_f64 v[37:38], v[37:38], v[53:54]
	v_add_f64 v[39:40], v[39:40], v[55:56]
	v_mul_f64 v[67:68], v[103:104], s[30:31]
	v_mul_f64 v[128:129], v[103:104], s[44:45]
	;; [unrolled: 1-line block ×4, first 2 shown]
	v_add_f64 v[31:32], v[23:24], v[19:20]
	v_mul_f64 v[130:131], v[103:104], s[38:39]
	v_mul_f64 v[132:133], v[103:104], s[42:43]
	v_add_f64 v[63:64], v[9:10], v[93:94]
	v_add_f64 v[75:76], v[5:6], -v[97:98]
	v_add_f64 v[79:80], v[7:8], -v[99:100]
	v_mul_f64 v[146:147], v[59:60], s[38:39]
	v_mul_f64 v[148:149], v[45:46], s[38:39]
	v_fma_f64 v[69:70], v[105:106], s[24:25], -v[65:66]
	v_add_f64 v[57:58], v[37:38], v[41:42]
	v_add_f64 v[61:62], v[39:40], v[43:44]
	v_fma_f64 v[71:72], v[107:108], s[24:25], v[67:68]
	v_add_f64 v[37:38], v[35:36], v[43:44]
	v_add_f64 v[43:44], v[35:36], -v[43:44]
	v_add_f64 v[35:36], v[25:26], v[53:54]
	v_add_f64 v[25:26], v[25:26], -v[53:54]
	v_add_f64 v[53:54], v[21:22], v[17:18]
	v_fma_f64 v[13:14], v[105:106], s[24:25], v[65:66]
	v_fma_f64 v[15:16], v[107:108], s[24:25], -v[67:68]
	v_fma_f64 v[118:119], v[29:30], s[16:17], v[111:112]
	v_add_f64 v[65:66], v[7:8], v[99:100]
	v_add_f64 v[67:68], v[9:10], -v[93:94]
	v_fma_f64 v[111:112], v[29:30], s[16:17], -v[111:112]
	v_mul_f64 v[122:123], v[79:80], s[38:39]
	v_mul_f64 v[124:125], v[75:76], s[38:39]
	v_add_f64 v[39:40], v[33:34], v[41:42]
	v_add_f64 v[41:42], v[33:34], -v[41:42]
	v_add_f64 v[33:34], v[27:28], v[55:56]
	v_add_f64 v[27:28], v[27:28], -v[55:56]
	v_add_f64 v[55:56], v[11:12], v[95:96]
	v_mul_f64 v[9:10], v[101:102], s[36:37]
	v_add_f64 v[114:115], v[57:58], v[17:18]
	v_add_f64 v[116:117], v[61:62], v[19:20]
	v_add_f64 v[57:58], v[21:22], -v[17:18]
	v_add_f64 v[61:62], v[23:24], -v[19:20]
	v_mul_f64 v[17:18], v[51:52], s[44:45]
	v_mul_f64 v[19:20], v[47:48], s[44:45]
	v_fma_f64 v[21:22], v[49:50], s[16:17], -v[109:110]
	v_add_f64 v[23:24], v[1:2], v[69:70]
	v_add_f64 v[120:121], v[3:4], v[71:72]
	v_add_f64 v[71:72], v[5:6], v[97:98]
	v_add_f64 v[69:70], v[11:12], -v[95:96]
	v_fma_f64 v[109:110], v[49:50], s[16:17], v[109:110]
	v_add_f64 v[13:14], v[1:2], v[13:14]
	v_add_f64 v[15:16], v[3:4], v[15:16]
	v_mul_f64 v[136:137], v[67:68], s[22:23]
	v_mul_f64 v[11:12], v[101:102], s[44:45]
	v_fma_f64 v[154:155], v[107:108], s[40:41], v[132:133]
	v_mul_f64 v[140:141], v[41:42], s[42:43]
	v_fma_f64 v[132:133], v[107:108], s[40:41], -v[132:133]
	v_mul_f64 v[142:143], v[27:28], s[28:29]
	v_mul_f64 v[144:145], v[25:26], s[28:29]
	v_add_f64 v[5:6], v[114:115], v[93:94]
	v_add_f64 v[7:8], v[116:117], v[95:96]
	v_mul_f64 v[93:94], v[101:102], s[38:39]
	v_mul_f64 v[95:96], v[101:102], s[22:23]
	v_fma_f64 v[126:127], v[77:78], s[12:13], -v[17:18]
	v_fma_f64 v[17:18], v[77:78], s[12:13], v[17:18]
	v_mul_f64 v[114:115], v[101:102], s[26:27]
	v_add_f64 v[21:22], v[21:22], v[23:24]
	v_fma_f64 v[23:24], v[73:74], s[12:13], v[19:20]
	v_add_f64 v[118:119], v[118:119], v[120:121]
	v_mul_f64 v[134:135], v[69:70], s[22:23]
	v_fma_f64 v[19:20], v[73:74], s[12:13], -v[19:20]
	v_add_f64 v[13:14], v[109:110], v[13:14]
	v_add_f64 v[15:16], v[111:112], v[15:16]
	v_fma_f64 v[138:139], v[71:72], s[14:15], -v[122:123]
	v_mul_f64 v[116:117], v[101:102], s[42:43]
	v_mul_f64 v[101:102], v[101:102], s[28:29]
	;; [unrolled: 1-line block ×5, first 2 shown]
	v_fma_f64 v[122:123], v[71:72], s[14:15], v[122:123]
	v_add_f64 v[5:6], v[5:6], v[97:98]
	v_add_f64 v[7:8], v[7:8], v[99:100]
	v_mul_f64 v[97:98], v[103:104], s[22:23]
	v_mul_f64 v[99:100], v[103:104], s[26:27]
	;; [unrolled: 1-line block ×3, first 2 shown]
	v_fma_f64 v[150:151], v[105:106], s[20:21], -v[114:115]
	v_add_f64 v[21:22], v[126:127], v[21:22]
	v_fma_f64 v[126:127], v[65:66], s[14:15], v[124:125]
	v_add_f64 v[23:24], v[23:24], v[118:119]
	v_mul_f64 v[118:119], v[43:44], s[42:43]
	v_fma_f64 v[114:115], v[105:106], s[20:21], v[114:115]
	v_add_f64 v[13:14], v[17:18], v[13:14]
	v_fma_f64 v[17:18], v[65:66], s[14:15], -v[124:125]
	v_add_f64 v[15:16], v[19:20], v[15:16]
	v_fma_f64 v[124:125], v[63:64], s[18:19], -v[134:135]
	v_fma_f64 v[19:20], v[105:106], s[14:15], -v[93:94]
	v_fma_f64 v[93:94], v[105:106], s[14:15], v[93:94]
	v_fma_f64 v[134:135], v[63:64], s[18:19], v[134:135]
	;; [unrolled: 1-line block ×3, first 2 shown]
	v_add_f64 v[5:6], v[5:6], v[85:86]
	v_add_f64 v[7:8], v[7:8], v[87:88]
	v_fma_f64 v[85:86], v[105:106], s[16:17], -v[9:10]
	v_fma_f64 v[9:10], v[105:106], s[16:17], v[9:10]
	v_fma_f64 v[87:88], v[105:106], s[12:13], -v[11:12]
	v_fma_f64 v[11:12], v[105:106], s[12:13], v[11:12]
	v_fma_f64 v[152:153], v[107:108], s[18:19], v[97:98]
	v_add_f64 v[21:22], v[138:139], v[21:22]
	v_fma_f64 v[138:139], v[55:56], s[18:19], v[136:137]
	v_add_f64 v[23:24], v[126:127], v[23:24]
	v_fma_f64 v[126:127], v[105:106], s[18:19], -v[95:96]
	v_fma_f64 v[95:96], v[105:106], s[18:19], v[95:96]
	v_add_f64 v[13:14], v[122:123], v[13:14]
	v_fma_f64 v[122:123], v[55:56], s[18:19], -v[136:137]
	v_add_f64 v[15:16], v[17:18], v[15:16]
	v_fma_f64 v[17:18], v[107:108], s[12:13], v[128:129]
	v_fma_f64 v[128:129], v[107:108], s[12:13], -v[128:129]
	v_fma_f64 v[136:137], v[53:54], s[20:21], -v[109:110]
	;; [unrolled: 1-line block ×3, first 2 shown]
	v_fma_f64 v[156:157], v[107:108], s[34:35], v[103:104]
	v_fma_f64 v[103:104], v[107:108], s[34:35], -v[103:104]
	v_add_f64 v[168:169], v[1:2], v[19:20]
	v_add_f64 v[5:6], v[5:6], v[89:90]
	;; [unrolled: 1-line block ×3, first 2 shown]
	v_fma_f64 v[89:90], v[105:106], s[40:41], -v[116:117]
	v_fma_f64 v[91:92], v[105:106], s[40:41], v[116:117]
	v_fma_f64 v[116:117], v[105:106], s[34:35], -v[101:102]
	v_fma_f64 v[105:106], v[105:106], s[34:35], v[101:102]
	v_fma_f64 v[101:102], v[107:108], s[16:17], v[120:121]
	v_fma_f64 v[120:121], v[107:108], s[16:17], -v[120:121]
	v_add_f64 v[21:22], v[124:125], v[21:22]
	v_fma_f64 v[124:125], v[31:32], s[20:21], v[111:112]
	v_add_f64 v[23:24], v[138:139], v[23:24]
	v_fma_f64 v[138:139], v[107:108], s[14:15], v[130:131]
	v_fma_f64 v[130:131], v[107:108], s[14:15], -v[130:131]
	v_add_f64 v[13:14], v[134:135], v[13:14]
	v_fma_f64 v[134:135], v[39:40], s[40:41], -v[118:119]
	v_add_f64 v[15:16], v[122:123], v[15:16]
	v_fma_f64 v[122:123], v[37:38], s[40:41], v[140:141]
	v_fma_f64 v[111:112], v[31:32], s[20:21], -v[111:112]
	v_add_f64 v[160:161], v[1:2], v[85:86]
	v_add_f64 v[9:10], v[1:2], v[9:10]
	;; [unrolled: 1-line block ×6, first 2 shown]
	v_fma_f64 v[81:82], v[107:108], s[20:21], v[99:100]
	v_fma_f64 v[83:84], v[107:108], s[20:21], -v[99:100]
	v_mul_f64 v[107:108], v[51:52], s[26:27]
	v_add_f64 v[166:167], v[1:2], v[11:12]
	v_add_f64 v[162:163], v[3:4], v[101:102]
	;; [unrolled: 1-line block ×4, first 2 shown]
	v_fma_f64 v[136:137], v[49:50], s[14:15], -v[146:147]
	v_add_f64 v[23:24], v[124:125], v[23:24]
	v_fma_f64 v[124:125], v[29:30], s[14:15], v[148:149]
	v_add_f64 v[128:129], v[3:4], v[128:129]
	v_add_f64 v[138:139], v[3:4], v[138:139]
	;; [unrolled: 1-line block ×20, first 2 shown]
	v_mul_f64 v[1:2], v[47:48], s[26:27]
	v_fma_f64 v[3:4], v[49:50], s[14:15], v[146:147]
	v_fma_f64 v[11:12], v[29:30], s[14:15], -v[148:149]
	v_mul_f64 v[19:20], v[79:80], s[28:29]
	v_add_f64 v[13:14], v[158:159], v[13:14]
	v_mul_f64 v[103:104], v[59:60], s[26:27]
	v_fma_f64 v[105:106], v[39:40], s[40:41], v[118:119]
	v_add_f64 v[15:16], v[111:112], v[15:16]
	v_mul_f64 v[111:112], v[45:46], s[26:27]
	v_fma_f64 v[114:115], v[37:38], s[40:41], -v[140:141]
	v_add_f64 v[21:22], v[134:135], v[21:22]
	v_fma_f64 v[116:117], v[35:36], s[34:35], -v[142:143]
	v_add_f64 v[23:24], v[122:123], v[23:24]
	v_fma_f64 v[118:119], v[33:34], s[34:35], v[144:145]
	v_add_f64 v[122:123], v[136:137], v[160:161]
	v_fma_f64 v[132:133], v[77:78], s[20:21], -v[107:108]
	v_add_f64 v[124:125], v[124:125], v[162:163]
	v_mul_f64 v[136:137], v[75:76], s[28:29]
	v_fma_f64 v[107:108], v[77:78], s[20:21], v[107:108]
	v_mul_f64 v[140:141], v[69:70], s[54:55]
	v_fma_f64 v[142:143], v[35:36], s[34:35], v[142:143]
	v_fma_f64 v[144:145], v[33:34], s[34:35], -v[144:145]
	v_fma_f64 v[134:135], v[73:74], s[20:21], v[1:2]
	v_add_f64 v[3:4], v[3:4], v[9:10]
	v_fma_f64 v[1:2], v[73:74], s[20:21], -v[1:2]
	v_add_f64 v[120:121], v[11:12], v[120:121]
	v_mul_f64 v[146:147], v[59:60], s[28:29]
	v_mul_f64 v[150:151], v[45:46], s[28:29]
	v_add_f64 v[13:14], v[105:106], v[13:14]
	v_mul_f64 v[105:106], v[51:52], s[46:47]
	v_mul_f64 v[154:155], v[69:70], s[28:29]
	v_add_f64 v[15:16], v[114:115], v[15:16]
	v_mul_f64 v[114:115], v[47:48], s[46:47]
	v_add_f64 v[9:10], v[116:117], v[21:22]
	v_fma_f64 v[21:22], v[49:50], s[20:21], -v[103:104]
	v_add_f64 v[11:12], v[118:119], v[23:24]
	v_fma_f64 v[23:24], v[29:30], s[20:21], v[111:112]
	v_add_f64 v[116:117], v[132:133], v[122:123]
	v_fma_f64 v[118:119], v[71:72], s[34:35], -v[19:20]
	v_mul_f64 v[132:133], v[67:68], s[54:55]
	v_fma_f64 v[19:20], v[71:72], s[34:35], v[19:20]
	s_mov_b32 s47, 0x3feca52d
	s_mov_b32 s46, s44
	v_fma_f64 v[111:112], v[29:30], s[20:21], -v[111:112]
	v_add_f64 v[122:123], v[134:135], v[124:125]
	v_fma_f64 v[124:125], v[65:66], s[34:35], v[136:137]
	v_add_f64 v[107:108], v[107:108], v[3:4]
	v_fma_f64 v[134:135], v[65:66], s[34:35], -v[136:137]
	v_add_f64 v[120:121], v[1:2], v[120:121]
	v_mul_f64 v[136:137], v[61:62], s[52:53]
	v_add_f64 v[1:2], v[142:143], v[13:14]
	v_mul_f64 v[13:14], v[79:80], s[52:53]
	v_mul_f64 v[142:143], v[75:76], s[52:53]
	v_add_f64 v[3:4], v[144:145], v[15:16]
	v_fma_f64 v[15:16], v[49:50], s[20:21], v[103:104]
	v_fma_f64 v[103:104], v[77:78], s[34:35], -v[105:106]
	v_add_f64 v[21:22], v[21:22], v[164:165]
	v_mul_f64 v[144:145], v[69:70], s[48:49]
	v_add_f64 v[17:18], v[23:24], v[17:18]
	v_fma_f64 v[23:24], v[73:74], s[34:35], v[114:115]
	v_add_f64 v[116:117], v[118:119], v[116:117]
	v_fma_f64 v[118:119], v[63:64], s[40:41], -v[140:141]
	v_fma_f64 v[140:141], v[63:64], s[40:41], v[140:141]
	v_fma_f64 v[105:106], v[77:78], s[34:35], v[105:106]
	v_fma_f64 v[114:115], v[73:74], s[34:35], -v[114:115]
	v_add_f64 v[111:112], v[111:112], v[128:129]
	v_mul_f64 v[128:129], v[27:28], s[50:51]
	v_add_f64 v[122:123], v[124:125], v[122:123]
	v_fma_f64 v[124:125], v[55:56], s[40:41], v[132:133]
	v_add_f64 v[19:20], v[19:20], v[107:108]
	v_mul_f64 v[107:108], v[57:58], s[52:53]
	v_fma_f64 v[132:133], v[55:56], s[40:41], -v[132:133]
	v_add_f64 v[120:121], v[134:135], v[120:121]
	v_mul_f64 v[134:135], v[43:44], s[46:47]
	v_add_f64 v[15:16], v[15:16], v[166:167]
	v_add_f64 v[21:22], v[103:104], v[21:22]
	v_mul_f64 v[103:104], v[67:68], s[48:49]
	v_add_f64 v[17:18], v[23:24], v[17:18]
	v_fma_f64 v[23:24], v[71:72], s[18:19], -v[13:14]
	v_add_f64 v[116:117], v[118:119], v[116:117]
	v_fma_f64 v[118:119], v[65:66], s[18:19], v[142:143]
	v_fma_f64 v[13:14], v[71:72], s[18:19], v[13:14]
	v_fma_f64 v[142:143], v[65:66], s[18:19], -v[142:143]
	v_add_f64 v[111:112], v[114:115], v[111:112]
	v_mul_f64 v[114:115], v[41:42], s[38:39]
	v_add_f64 v[122:123], v[124:125], v[122:123]
	v_fma_f64 v[124:125], v[53:54], s[18:19], -v[136:137]
	v_add_f64 v[19:20], v[140:141], v[19:20]
	v_fma_f64 v[140:141], v[31:32], s[18:19], v[107:108]
	v_add_f64 v[120:121], v[132:133], v[120:121]
	v_mul_f64 v[132:133], v[41:42], s[46:47]
	v_fma_f64 v[136:137], v[53:54], s[18:19], v[136:137]
	v_fma_f64 v[107:108], v[31:32], s[18:19], -v[107:108]
	v_add_f64 v[15:16], v[105:106], v[15:16]
	v_mul_f64 v[105:106], v[25:26], s[50:51]
	v_add_f64 v[21:22], v[23:24], v[21:22]
	v_fma_f64 v[23:24], v[63:64], s[16:17], -v[144:145]
	v_add_f64 v[17:18], v[118:119], v[17:18]
	v_fma_f64 v[118:119], v[55:56], s[16:17], v[103:104]
	v_fma_f64 v[144:145], v[63:64], s[16:17], v[144:145]
	v_add_f64 v[111:112], v[142:143], v[111:112]
	v_fma_f64 v[103:104], v[55:56], s[16:17], -v[103:104]
	v_mul_f64 v[142:143], v[79:80], s[50:51]
	v_add_f64 v[116:117], v[124:125], v[116:117]
	v_fma_f64 v[124:125], v[39:40], s[12:13], -v[134:135]
	v_add_f64 v[122:123], v[140:141], v[122:123]
	v_fma_f64 v[134:135], v[39:40], s[12:13], v[134:135]
	v_fma_f64 v[140:141], v[37:38], s[12:13], v[132:133]
	v_add_f64 v[19:20], v[136:137], v[19:20]
	v_mul_f64 v[136:137], v[61:62], s[30:31]
	v_fma_f64 v[132:133], v[37:38], s[12:13], -v[132:133]
	v_add_f64 v[107:108], v[107:108], v[120:121]
	v_mul_f64 v[120:121], v[57:58], s[30:31]
	v_add_f64 v[148:149], v[13:14], v[15:16]
	v_add_f64 v[21:22], v[23:24], v[21:22]
	v_mul_f64 v[23:24], v[43:44], s[38:39]
	v_add_f64 v[118:119], v[118:119], v[17:18]
	v_fma_f64 v[17:18], v[35:36], s[24:25], -v[128:129]
	v_fma_f64 v[128:129], v[35:36], s[24:25], v[128:129]
	v_add_f64 v[103:104], v[103:104], v[111:112]
	v_add_f64 v[116:117], v[124:125], v[116:117]
	v_fma_f64 v[124:125], v[33:34], s[24:25], v[105:106]
	v_fma_f64 v[105:106], v[33:34], s[24:25], -v[105:106]
	v_add_f64 v[122:123], v[140:141], v[122:123]
	v_add_f64 v[134:135], v[134:135], v[19:20]
	v_fma_f64 v[140:141], v[53:54], s[24:25], -v[136:137]
	v_add_f64 v[107:108], v[132:133], v[107:108]
	v_fma_f64 v[132:133], v[31:32], s[24:25], v[120:121]
	v_fma_f64 v[120:121], v[31:32], s[24:25], -v[120:121]
	v_add_f64 v[17:18], v[17:18], v[116:117]
	v_fma_f64 v[116:117], v[39:40], s[14:15], -v[23:24]
	v_add_f64 v[19:20], v[124:125], v[122:123]
	;; [unrolled: 2-line block ×3, first 2 shown]
	v_mul_f64 v[124:125], v[51:52], s[52:53]
	v_add_f64 v[13:14], v[128:129], v[134:135]
	v_add_f64 v[15:16], v[105:106], v[107:108]
	;; [unrolled: 1-line block ×3, first 2 shown]
	v_fma_f64 v[128:129], v[37:38], s[14:15], v[114:115]
	v_mul_f64 v[105:106], v[27:28], s[42:43]
	v_mul_f64 v[107:108], v[25:26], s[42:43]
	v_add_f64 v[132:133], v[144:145], v[148:149]
	v_fma_f64 v[134:135], v[53:54], s[24:25], v[136:137]
	v_fma_f64 v[136:137], v[29:30], s[34:35], v[150:151]
	v_mul_f64 v[140:141], v[47:48], s[52:53]
	v_fma_f64 v[144:145], v[49:50], s[34:35], v[146:147]
	v_mul_f64 v[146:147], v[69:70], s[44:45]
	v_fma_f64 v[148:149], v[29:30], s[34:35], -v[150:151]
	v_add_f64 v[120:121], v[120:121], v[103:104]
	v_fma_f64 v[114:115], v[37:38], s[14:15], -v[114:115]
	v_mul_f64 v[150:151], v[51:52], s[48:49]
	ds_write_b128 v113, v[5:8]
	ds_write_b128 v113, v[9:12] offset:16
	ds_write_b128 v113, v[17:20] offset:32
	v_mul_hi_u32 v9, 0x2222223, v0
	v_add_f64 v[21:22], v[116:117], v[21:22]
	v_add_f64 v[116:117], v[122:123], v[168:169]
	v_fma_f64 v[122:123], v[77:78], s[18:19], -v[124:125]
	v_fma_f64 v[124:125], v[77:78], s[18:19], v[124:125]
	v_add_f64 v[118:119], v[128:129], v[118:119]
	v_fma_f64 v[128:129], v[35:36], s[40:41], -v[105:106]
	v_fma_f64 v[111:112], v[33:34], s[40:41], v[107:108]
	v_mul_u32_u24_e32 v5, 0x78, v9
	v_add_f64 v[132:133], v[134:135], v[132:133]
	v_add_f64 v[134:135], v[136:137], v[138:139]
	v_fma_f64 v[136:137], v[73:74], s[18:19], v[140:141]
	v_mul_f64 v[138:139], v[75:76], s[50:51]
	v_add_f64 v[144:145], v[144:145], v[170:171]
	v_add_f64 v[130:131], v[148:149], v[130:131]
	v_mul_f64 v[148:149], v[61:62], s[42:43]
	v_fma_f64 v[140:141], v[73:74], s[18:19], -v[140:141]
	v_sub_nc_u32_e32 v10, v0, v5
	v_add_f64 v[116:117], v[122:123], v[116:117]
	v_fma_f64 v[122:123], v[71:72], s[24:25], -v[142:143]
	v_add_f64 v[21:22], v[128:129], v[21:22]
	v_fma_f64 v[128:129], v[39:40], s[14:15], v[23:24]
	v_add_f64 v[23:24], v[111:112], v[118:119]
	v_add_f64 v[111:112], v[136:137], v[134:135]
	v_fma_f64 v[118:119], v[65:66], s[24:25], v[138:139]
	v_mul_f64 v[134:135], v[67:68], s[44:45]
	v_mul_f64 v[136:137], v[59:60], s[54:55]
	v_add_f64 v[124:125], v[124:125], v[144:145]
	v_mul_f64 v[144:145], v[45:46], s[54:55]
	v_add_f64 v[130:131], v[140:141], v[130:131]
	v_mul_f64 v[140:141], v[57:58], s[42:43]
	v_fma_f64 v[138:139], v[65:66], s[24:25], -v[138:139]
	s_mov_b32 s55, 0x3fe9895b
	s_mov_b32 s54, s26
	v_add_f64 v[116:117], v[122:123], v[116:117]
	v_fma_f64 v[122:123], v[63:64], s[12:13], -v[146:147]
	v_add_f64 v[103:104], v[128:129], v[132:133]
	v_fma_f64 v[128:129], v[71:72], s[24:25], v[142:143]
	v_add_f64 v[118:119], v[118:119], v[111:112]
	v_fma_f64 v[132:133], v[55:56], s[12:13], v[134:135]
	v_fma_f64 v[142:143], v[49:50], s[40:41], -v[136:137]
	v_add_f64 v[111:112], v[114:115], v[120:121]
	v_fma_f64 v[120:121], v[29:30], s[40:41], v[144:145]
	v_fma_f64 v[136:137], v[49:50], s[40:41], v[136:137]
	v_fma_f64 v[144:145], v[29:30], s[40:41], -v[144:145]
	v_add_f64 v[130:131], v[138:139], v[130:131]
	v_mul_f64 v[138:139], v[43:44], s[54:55]
	v_fma_f64 v[134:135], v[55:56], s[12:13], -v[134:135]
	v_add_f64 v[116:117], v[122:123], v[116:117]
	v_fma_f64 v[122:123], v[53:54], s[40:41], -v[148:149]
	v_add_f64 v[124:125], v[128:129], v[124:125]
	v_fma_f64 v[128:129], v[63:64], s[12:13], v[146:147]
	v_fma_f64 v[146:147], v[53:54], s[40:41], v[148:149]
	v_add_f64 v[114:115], v[132:133], v[118:119]
	v_add_f64 v[118:119], v[142:143], v[126:127]
	v_fma_f64 v[126:127], v[77:78], s[16:17], -v[150:151]
	v_mul_f64 v[132:133], v[47:48], s[48:49]
	v_mul_f64 v[142:143], v[79:80], s[44:45]
	v_add_f64 v[120:121], v[120:121], v[152:153]
	v_add_f64 v[136:137], v[136:137], v[172:173]
	v_mul_f64 v[152:153], v[75:76], s[44:45]
	v_add_f64 v[144:145], v[144:145], v[174:175]
	v_fma_f64 v[150:151], v[77:78], s[16:17], v[150:151]
	s_mov_b32 s45, 0x3fefdd0d
	s_mov_b32 s44, s38
	v_add_f64 v[130:131], v[134:135], v[130:131]
	v_add_f64 v[116:117], v[122:123], v[116:117]
	v_fma_f64 v[122:123], v[31:32], s[40:41], v[140:141]
	v_fma_f64 v[140:141], v[31:32], s[40:41], -v[140:141]
	v_add_f64 v[124:125], v[128:129], v[124:125]
	v_mul_f64 v[128:129], v[41:42], s[54:55]
	v_add_f64 v[118:119], v[126:127], v[118:119]
	v_fma_f64 v[126:127], v[73:74], s[16:17], v[132:133]
	v_fma_f64 v[148:149], v[71:72], s[12:13], -v[142:143]
	v_fma_f64 v[132:133], v[73:74], s[16:17], -v[132:133]
	v_fma_f64 v[142:143], v[71:72], s[12:13], v[142:143]
	v_add_f64 v[136:137], v[150:151], v[136:137]
	v_mul_f64 v[150:151], v[67:68], s[28:29]
	v_add_f64 v[114:115], v[122:123], v[114:115]
	v_fma_f64 v[122:123], v[39:40], s[20:21], -v[138:139]
	v_fma_f64 v[138:139], v[39:40], s[20:21], v[138:139]
	v_add_f64 v[124:125], v[146:147], v[124:125]
	v_fma_f64 v[134:135], v[37:38], s[20:21], v[128:129]
	v_fma_f64 v[146:147], v[63:64], s[34:35], -v[154:155]
	v_add_f64 v[130:131], v[140:141], v[130:131]
	v_fma_f64 v[128:129], v[37:38], s[20:21], -v[128:129]
	v_mul_f64 v[140:141], v[51:52], s[30:31]
	v_add_f64 v[120:121], v[126:127], v[120:121]
	v_add_f64 v[118:119], v[148:149], v[118:119]
	v_fma_f64 v[126:127], v[65:66], s[12:13], v[152:153]
	v_mul_f64 v[148:149], v[59:60], s[52:53]
	v_add_f64 v[132:133], v[132:133], v[144:145]
	v_mul_f64 v[144:145], v[61:62], s[44:45]
	v_fma_f64 v[152:153], v[65:66], s[12:13], -v[152:153]
	v_add_f64 v[136:137], v[142:143], v[136:137]
	v_fma_f64 v[142:143], v[63:64], s[34:35], v[154:155]
	v_mul_f64 v[154:155], v[47:48], s[30:31]
	v_add_f64 v[116:117], v[122:123], v[116:117]
	v_mul_f64 v[122:123], v[45:46], s[52:53]
	v_add_f64 v[124:125], v[138:139], v[124:125]
	v_add_f64 v[114:115], v[134:135], v[114:115]
	;; [unrolled: 1-line block ×3, first 2 shown]
	v_fma_f64 v[130:131], v[77:78], s[24:25], -v[140:141]
	v_fma_f64 v[140:141], v[77:78], s[24:25], v[140:141]
	v_add_f64 v[118:119], v[146:147], v[118:119]
	v_add_f64 v[120:121], v[126:127], v[120:121]
	v_fma_f64 v[134:135], v[49:50], s[18:19], -v[148:149]
	v_fma_f64 v[126:127], v[55:56], s[34:35], v[150:151]
	v_fma_f64 v[138:139], v[53:54], s[14:15], -v[144:145]
	v_mul_f64 v[146:147], v[57:58], s[44:45]
	v_add_f64 v[132:133], v[152:153], v[132:133]
	v_fma_f64 v[150:151], v[55:56], s[34:35], -v[150:151]
	v_fma_f64 v[148:149], v[49:50], s[18:19], v[148:149]
	v_add_f64 v[136:137], v[142:143], v[136:137]
	v_mul_f64 v[142:143], v[75:76], s[42:43]
	v_fma_f64 v[144:145], v[53:54], s[14:15], v[144:145]
	v_fma_f64 v[152:153], v[29:30], s[18:19], v[122:123]
	v_fma_f64 v[122:123], v[29:30], s[18:19], -v[122:123]
	v_add_f64 v[109:110], v[134:135], v[109:110]
	v_mul_f64 v[134:135], v[79:80], s[42:43]
	v_add_f64 v[120:121], v[126:127], v[120:121]
	v_add_f64 v[118:119], v[138:139], v[118:119]
	v_fma_f64 v[126:127], v[31:32], s[14:15], v[146:147]
	v_fma_f64 v[138:139], v[73:74], s[24:25], v[154:155]
	v_add_f64 v[132:133], v[150:151], v[132:133]
	v_mul_f64 v[150:151], v[41:42], s[30:31]
	v_fma_f64 v[146:147], v[31:32], s[14:15], -v[146:147]
	v_add_f64 v[99:100], v[148:149], v[99:100]
	v_mul_f64 v[148:149], v[69:70], s[44:45]
	v_add_f64 v[101:102], v[152:153], v[101:102]
	v_mul_f64 v[152:153], v[43:44], s[30:31]
	v_add_f64 v[136:137], v[144:145], v[136:137]
	v_add_f64 v[97:98], v[122:123], v[97:98]
	v_fma_f64 v[154:155], v[73:74], s[24:25], -v[154:155]
	v_add_f64 v[109:110], v[130:131], v[109:110]
	v_fma_f64 v[130:131], v[71:72], s[40:41], -v[134:135]
	v_fma_f64 v[134:135], v[71:72], s[40:41], v[134:135]
	v_add_f64 v[120:121], v[126:127], v[120:121]
	v_fma_f64 v[126:127], v[65:66], s[40:41], v[142:143]
	v_fma_f64 v[142:143], v[65:66], s[40:41], -v[142:143]
	v_fma_f64 v[122:123], v[37:38], s[24:25], v[150:151]
	v_add_f64 v[132:133], v[146:147], v[132:133]
	v_mul_f64 v[146:147], v[59:60], s[46:47]
	v_fma_f64 v[150:151], v[37:38], s[24:25], -v[150:151]
	v_add_f64 v[101:102], v[138:139], v[101:102]
	v_mul_f64 v[138:139], v[67:68], s[44:45]
	v_fma_f64 v[144:145], v[39:40], s[24:25], -v[152:153]
	v_fma_f64 v[152:153], v[39:40], s[24:25], v[152:153]
	v_add_f64 v[99:100], v[140:141], v[99:100]
	v_mul_f64 v[140:141], v[45:46], s[46:47]
	v_mul_f64 v[59:60], v[59:60], s[50:51]
	;; [unrolled: 1-line block ×3, first 2 shown]
	v_add_f64 v[97:98], v[154:155], v[97:98]
	v_mul_f64 v[154:155], v[51:52], s[38:39]
	v_mul_f64 v[51:52], v[51:52], s[42:43]
	v_add_f64 v[109:110], v[130:131], v[109:110]
	v_fma_f64 v[130:131], v[63:64], s[14:15], -v[148:149]
	v_add_f64 v[120:121], v[122:123], v[120:121]
	v_mul_f64 v[122:123], v[61:62], s[36:37]
	v_add_f64 v[132:133], v[150:151], v[132:133]
	v_add_f64 v[101:102], v[126:127], v[101:102]
	v_fma_f64 v[126:127], v[55:56], s[14:15], v[138:139]
	v_add_f64 v[118:119], v[144:145], v[118:119]
	v_fma_f64 v[144:145], v[49:50], s[12:13], -v[146:147]
	v_add_f64 v[136:137], v[152:153], v[136:137]
	v_mul_f64 v[150:151], v[57:58], s[36:37]
	v_mul_f64 v[152:153], v[47:48], s[38:39]
	v_fma_f64 v[146:147], v[49:50], s[12:13], v[146:147]
	v_add_f64 v[99:100], v[134:135], v[99:100]
	v_fma_f64 v[134:135], v[63:64], s[14:15], v[148:149]
	v_fma_f64 v[148:149], v[29:30], s[24:25], v[45:46]
	v_mul_f64 v[47:48], v[47:48], s[42:43]
	v_add_f64 v[97:98], v[142:143], v[97:98]
	v_add_f64 v[109:110], v[130:131], v[109:110]
	v_fma_f64 v[130:131], v[29:30], s[12:13], v[140:141]
	v_fma_f64 v[140:141], v[29:30], s[12:13], -v[140:141]
	v_fma_f64 v[29:30], v[29:30], s[24:25], -v[45:46]
	;; [unrolled: 1-line block ×4, first 2 shown]
	v_add_f64 v[101:102], v[126:127], v[101:102]
	v_fma_f64 v[126:127], v[49:50], s[24:25], -v[59:60]
	v_fma_f64 v[49:50], v[49:50], s[24:25], v[59:60]
	v_fma_f64 v[59:60], v[53:54], s[16:17], -v[122:123]
	v_add_f64 v[95:96], v[144:145], v[95:96]
	v_mul_f64 v[144:145], v[79:80], s[54:55]
	v_fma_f64 v[45:46], v[31:32], s[16:17], v[150:151]
	v_add_f64 v[91:92], v[146:147], v[91:92]
	v_fma_f64 v[146:147], v[77:78], s[14:15], v[154:155]
	v_add_f64 v[87:88], v[148:149], v[87:88]
	v_mul_f64 v[79:80], v[79:80], s[48:49]
	v_add_f64 v[99:100], v[134:135], v[99:100]
	v_fma_f64 v[122:123], v[53:54], s[16:17], v[122:123]
	v_add_f64 v[93:94], v[130:131], v[93:94]
	v_fma_f64 v[130:131], v[73:74], s[14:15], v[152:153]
	v_add_f64 v[89:90], v[140:141], v[89:90]
	v_fma_f64 v[140:141], v[73:74], s[14:15], -v[152:153]
	v_mul_f64 v[152:153], v[75:76], s[54:55]
	v_mul_f64 v[75:76], v[75:76], s[48:49]
	v_add_f64 v[29:30], v[29:30], v[81:82]
	v_add_f64 v[85:86], v[126:127], v[85:86]
	v_fma_f64 v[126:127], v[77:78], s[40:41], -v[51:52]
	v_add_f64 v[49:50], v[49:50], v[83:84]
	v_fma_f64 v[83:84], v[73:74], s[40:41], v[47:48]
	v_fma_f64 v[51:52], v[77:78], s[40:41], v[51:52]
	v_fma_f64 v[47:48], v[73:74], s[40:41], -v[47:48]
	v_add_f64 v[59:60], v[59:60], v[109:110]
	v_add_f64 v[77:78], v[142:143], v[95:96]
	v_fma_f64 v[95:96], v[71:72], s[20:21], -v[144:145]
	v_add_f64 v[45:46], v[45:46], v[101:102]
	v_add_f64 v[73:74], v[138:139], v[97:98]
	;; [unrolled: 1-line block ×3, first 2 shown]
	v_mul_f64 v[101:102], v[69:70], s[30:31]
	v_add_f64 v[81:82], v[130:131], v[93:94]
	v_fma_f64 v[109:110], v[71:72], s[20:21], v[144:145]
	v_add_f64 v[89:90], v[140:141], v[89:90]
	v_fma_f64 v[97:98], v[65:66], s[20:21], v[152:153]
	v_mul_f64 v[130:131], v[67:68], s[30:31]
	v_fma_f64 v[134:135], v[65:66], s[20:21], -v[152:153]
	v_mul_f64 v[69:70], v[69:70], s[26:27]
	v_add_f64 v[99:100], v[122:123], v[99:100]
	v_mul_f64 v[93:94], v[27:28], s[48:49]
	v_add_f64 v[85:86], v[126:127], v[85:86]
	v_fma_f64 v[126:127], v[71:72], s[16:17], -v[79:80]
	v_add_f64 v[83:84], v[83:84], v[87:88]
	v_add_f64 v[49:50], v[51:52], v[49:50]
	v_fma_f64 v[51:52], v[65:66], s[16:17], v[75:76]
	v_fma_f64 v[71:72], v[71:72], s[16:17], v[79:80]
	v_add_f64 v[29:30], v[47:48], v[29:30]
	v_mul_f64 v[47:48], v[67:68], s[26:27]
	v_fma_f64 v[65:66], v[65:66], s[16:17], -v[75:76]
	v_add_f64 v[77:78], v[95:96], v[77:78]
	v_fma_f64 v[67:68], v[35:36], s[40:41], v[105:106]
	v_fma_f64 v[79:80], v[33:34], s[40:41], -v[107:108]
	v_fma_f64 v[95:96], v[31:32], s[16:17], -v[150:151]
	v_add_f64 v[91:92], v[109:110], v[91:92]
	v_mul_f64 v[107:108], v[61:62], s[28:29]
	v_add_f64 v[81:82], v[97:98], v[81:82]
	v_fma_f64 v[97:98], v[63:64], s[24:25], -v[101:102]
	v_fma_f64 v[105:106], v[55:56], s[24:25], v[130:131]
	v_add_f64 v[89:90], v[134:135], v[89:90]
	v_mul_f64 v[109:110], v[57:58], s[28:29]
	v_fma_f64 v[101:102], v[63:64], s[24:25], v[101:102]
	v_fma_f64 v[122:123], v[55:56], s[24:25], -v[130:131]
	v_mul_f64 v[61:62], v[61:62], s[46:47]
	v_add_f64 v[85:86], v[126:127], v[85:86]
	v_mul_f64 v[57:58], v[57:58], s[46:47]
	v_mul_f64 v[87:88], v[25:26], s[48:49]
	v_add_f64 v[51:52], v[51:52], v[83:84]
	v_add_f64 v[49:50], v[71:72], v[49:50]
	v_fma_f64 v[71:72], v[63:64], s[20:21], -v[69:70]
	v_fma_f64 v[63:64], v[63:64], s[20:21], v[69:70]
	v_fma_f64 v[69:70], v[55:56], s[20:21], v[47:48]
	v_add_f64 v[29:30], v[65:66], v[29:30]
	v_fma_f64 v[47:48], v[55:56], s[20:21], -v[47:48]
	v_mul_f64 v[65:66], v[27:28], s[26:27]
	v_add_f64 v[73:74], v[95:96], v[73:74]
	v_mul_f64 v[95:96], v[43:44], s[28:29]
	v_mul_f64 v[55:56], v[25:26], s[26:27]
	v_fma_f64 v[75:76], v[35:36], s[16:17], -v[93:94]
	v_add_f64 v[77:78], v[97:98], v[77:78]
	v_mul_f64 v[97:98], v[41:42], s[28:29]
	v_add_f64 v[81:82], v[105:106], v[81:82]
	v_fma_f64 v[105:106], v[53:54], s[34:35], -v[107:108]
	v_add_f64 v[91:92], v[101:102], v[91:92]
	v_fma_f64 v[101:102], v[31:32], s[34:35], v[109:110]
	v_add_f64 v[89:90], v[122:123], v[89:90]
	v_fma_f64 v[107:108], v[53:54], s[34:35], v[107:108]
	v_mul_f64 v[122:123], v[43:44], s[48:49]
	v_fma_f64 v[109:110], v[31:32], s[34:35], -v[109:110]
	v_mul_f64 v[43:44], v[43:44], s[22:23]
	v_fma_f64 v[83:84], v[33:34], s[16:17], v[87:88]
	v_add_f64 v[71:72], v[71:72], v[85:86]
	v_mul_f64 v[85:86], v[41:42], s[48:49]
	v_add_f64 v[51:52], v[69:70], v[51:52]
	v_fma_f64 v[69:70], v[53:54], s[12:13], -v[61:62]
	v_add_f64 v[49:50], v[63:64], v[49:50]
	v_fma_f64 v[63:64], v[31:32], s[12:13], v[57:58]
	v_fma_f64 v[53:54], v[53:54], s[12:13], v[61:62]
	v_add_f64 v[29:30], v[47:48], v[29:30]
	v_fma_f64 v[31:32], v[31:32], s[12:13], -v[57:58]
	v_mul_f64 v[41:42], v[41:42], s[22:23]
	v_fma_f64 v[57:58], v[39:40], s[34:35], -v[95:96]
	v_fma_f64 v[95:96], v[39:40], s[34:35], v[95:96]
	v_fma_f64 v[61:62], v[35:36], s[20:21], -v[65:66]
	v_add_f64 v[77:78], v[105:106], v[77:78]
	v_fma_f64 v[105:106], v[37:38], s[34:35], v[97:98]
	v_add_f64 v[81:82], v[101:102], v[81:82]
	v_mul_f64 v[101:102], v[27:28], s[46:47]
	v_add_f64 v[91:92], v[107:108], v[91:92]
	v_mul_f64 v[107:108], v[25:26], s[46:47]
	v_add_f64 v[89:90], v[109:110], v[89:90]
	v_fma_f64 v[109:110], v[39:40], s[16:17], -v[122:123]
	v_fma_f64 v[122:123], v[39:40], s[16:17], v[122:123]
	v_fma_f64 v[97:98], v[37:38], s[34:35], -v[97:98]
	v_fma_f64 v[65:66], v[35:36], s[20:21], v[65:66]
	v_fma_f64 v[47:48], v[33:34], s[20:21], v[55:56]
	v_add_f64 v[69:70], v[69:70], v[71:72]
	v_fma_f64 v[71:72], v[37:38], s[16:17], v[85:86]
	v_add_f64 v[51:52], v[63:64], v[51:52]
	v_mul_f64 v[63:64], v[27:28], s[22:23]
	v_add_f64 v[49:50], v[53:54], v[49:50]
	v_mul_f64 v[53:54], v[25:26], s[22:23]
	v_add_f64 v[29:30], v[31:32], v[29:30]
	v_fma_f64 v[31:32], v[39:40], s[18:19], -v[43:44]
	v_fma_f64 v[39:40], v[39:40], s[18:19], v[43:44]
	v_fma_f64 v[43:44], v[37:38], s[18:19], v[41:42]
	v_mul_f64 v[27:28], v[27:28], s[44:45]
	v_mul_f64 v[25:26], v[25:26], s[44:45]
	v_fma_f64 v[85:86], v[37:38], s[16:17], -v[85:86]
	v_fma_f64 v[37:38], v[37:38], s[18:19], -v[41:42]
	v_add_f64 v[57:58], v[57:58], v[59:60]
	v_add_f64 v[59:60], v[105:106], v[45:46]
	v_fma_f64 v[45:46], v[35:36], s[12:13], -v[101:102]
	v_fma_f64 v[105:106], v[33:34], s[12:13], v[107:108]
	v_add_f64 v[95:96], v[95:96], v[99:100]
	v_fma_f64 v[99:100], v[33:34], s[12:13], -v[107:108]
	v_add_f64 v[77:78], v[109:110], v[77:78]
	v_add_f64 v[91:92], v[122:123], v[91:92]
	;; [unrolled: 1-line block ×4, first 2 shown]
	v_fma_f64 v[97:98], v[35:36], s[12:13], v[101:102]
	v_fma_f64 v[81:82], v[35:36], s[18:19], -v[63:64]
	v_fma_f64 v[63:64], v[35:36], s[18:19], v[63:64]
	v_fma_f64 v[55:56], v[33:34], s[20:21], -v[55:56]
	v_fma_f64 v[101:102], v[33:34], s[18:19], v[53:54]
	v_add_f64 v[69:70], v[31:32], v[69:70]
	v_add_f64 v[126:127], v[39:40], v[49:50]
	;; [unrolled: 1-line block ×3, first 2 shown]
	v_fma_f64 v[109:110], v[35:36], s[14:15], -v[27:28]
	v_fma_f64 v[122:123], v[33:34], s[14:15], v[25:26]
	v_fma_f64 v[134:135], v[35:36], s[14:15], v[27:28]
	v_add_f64 v[130:131], v[37:38], v[29:30]
	v_fma_f64 v[138:139], v[33:34], s[14:15], -v[25:26]
	v_add_f64 v[85:86], v[85:86], v[89:90]
	v_fma_f64 v[89:90], v[33:34], s[18:19], -v[53:54]
	v_fma_f64 v[93:94], v[35:36], s[16:17], v[93:94]
	v_fma_f64 v[87:88], v[33:34], s[16:17], -v[87:88]
	v_add_f64 v[25:26], v[67:68], v[103:104]
	v_add_f64 v[27:28], v[79:80], v[111:112]
	;; [unrolled: 1-line block ×22, first 2 shown]
	s_mul_hi_u32 s12, s8, s1
	s_mul_i32 s13, s8, s1
	s_add_i32 s12, s12, s11
	s_add_u32 s11, s13, s56
	s_mul_hi_u32 s13, s6, s33
	s_mul_i32 s6, s6, s33
	s_addc_u32 s12, s12, 0
	s_add_i32 s13, s13, s7
	s_add_u32 s6, s11, s6
	s_addc_u32 s7, s12, s13
	s_andn2_b32 vcc_lo, exec_lo, s3
	ds_write_b128 v113, v[21:24] offset:48
	ds_write_b128 v113, v[29:32] offset:64
	ds_write_b128 v113, v[37:40] offset:80
	ds_write_b128 v113, v[45:48] offset:96
	ds_write_b128 v113, v[53:56] offset:112
	ds_write_b128 v113, v[61:64] offset:128
	ds_write_b128 v113, v[65:68] offset:144
	ds_write_b128 v113, v[57:60] offset:160
	ds_write_b128 v113, v[49:52] offset:176
	ds_write_b128 v113, v[41:44] offset:192
	ds_write_b128 v113, v[33:36] offset:208
	ds_write_b128 v113, v[25:28] offset:224
	ds_write_b128 v113, v[13:16] offset:240
	ds_write_b128 v113, v[1:4] offset:256
	s_waitcnt lgkmcnt(0)
	s_barrier
	buffer_gl0_inv
	s_cbranch_vccnz .LBB0_10
; %bb.7:
	v_mad_u64_u32 v[2:3], null, s8, v10, 0
	v_mul_lo_u32 v5, v9, s2
	v_mov_b32_e32 v6, 0
	s_lshl_b64 s[10:11], s[6:7], 4
	s_mov_b32 s3, 0
	s_add_u32 s10, s4, s10
	s_addc_u32 s11, s5, s11
	v_mov_b32_e32 v1, v3
	v_lshlrev_b64 v[7:8], 4, v[5:6]
	v_add_nc_u32_e32 v5, s2, v5
	v_mad_u64_u32 v[3:4], null, s9, v10, v[1:2]
	v_mul_i32_i24_e32 v1, 0x120, v10
	v_lshlrev_b32_e32 v4, 4, v9
	v_lshlrev_b64 v[25:26], 4, v[5:6]
	v_add_nc_u32_e32 v5, s2, v5
	v_add3_u32 v1, 0, v1, v4
	v_lshlrev_b64 v[2:3], 4, v[2:3]
	v_lshlrev_b64 v[27:28], 4, v[5:6]
	ds_read_b128 v[13:16], v1
	ds_read_b128 v[17:20], v1 offset:16
	ds_read_b128 v[21:24], v1 offset:32
	v_add_nc_u32_e32 v5, s2, v5
	v_add_co_u32 v11, vcc_lo, s10, v2
	v_add_co_ci_u32_e32 v12, vcc_lo, s11, v3, vcc_lo
	v_lshlrev_b64 v[31:32], 4, v[5:6]
	v_add_co_u32 v2, vcc_lo, v11, v7
	v_add_co_ci_u32_e32 v3, vcc_lo, v12, v8, vcc_lo
	v_add_co_u32 v7, vcc_lo, v11, v25
	v_add_co_ci_u32_e32 v8, vcc_lo, v12, v26, vcc_lo
	;; [unrolled: 2-line block ×3, first 2 shown]
	v_add_nc_u32_e32 v5, s2, v5
	ds_read_b128 v[25:28], v1 offset:48
	s_waitcnt lgkmcnt(3)
	global_store_dwordx4 v[2:3], v[13:16], off
	s_waitcnt lgkmcnt(2)
	global_store_dwordx4 v[7:8], v[17:20], off
	;; [unrolled: 2-line block ×3, first 2 shown]
	ds_read_b128 v[13:16], v1 offset:64
	ds_read_b128 v[17:20], v1 offset:80
	v_add_co_u32 v7, vcc_lo, v11, v31
	v_lshlrev_b64 v[2:3], 4, v[5:6]
	v_add_nc_u32_e32 v5, s2, v5
	v_add_co_ci_u32_e32 v8, vcc_lo, v12, v32, vcc_lo
	s_mov_b32 s10, 0
	s_mov_b32 s11, exec_lo
	v_lshlrev_b64 v[21:22], 4, v[5:6]
	v_add_co_u32 v2, vcc_lo, v11, v2
	v_add_co_ci_u32_e32 v3, vcc_lo, v12, v3, vcc_lo
	v_add_nc_u32_e32 v5, s2, v5
	v_add_co_u32 v21, vcc_lo, v11, v21
	v_add_co_ci_u32_e32 v22, vcc_lo, v12, v22, vcc_lo
	s_waitcnt lgkmcnt(2)
	global_store_dwordx4 v[7:8], v[25:28], off
	s_waitcnt lgkmcnt(1)
	global_store_dwordx4 v[2:3], v[13:16], off
	;; [unrolled: 2-line block ×3, first 2 shown]
	ds_read_b128 v[13:16], v1 offset:96
	ds_read_b128 v[17:20], v1 offset:112
	v_lshlrev_b64 v[7:8], 4, v[5:6]
	v_add_nc_u32_e32 v5, s2, v5
	ds_read_b128 v[21:24], v1 offset:128
	v_lshlrev_b64 v[2:3], 4, v[5:6]
	v_add_nc_u32_e32 v5, s2, v5
	v_add_co_u32 v7, vcc_lo, v11, v7
	v_add_co_ci_u32_e32 v8, vcc_lo, v12, v8, vcc_lo
	v_lshlrev_b64 v[25:26], 4, v[5:6]
	v_add_nc_u32_e32 v5, s2, v5
	v_add_co_u32 v2, vcc_lo, v11, v2
	v_add_co_ci_u32_e32 v3, vcc_lo, v12, v3, vcc_lo
	v_lshlrev_b64 v[27:28], 4, v[5:6]
	v_add_nc_u32_e32 v5, s2, v5
	v_add_co_u32 v25, vcc_lo, v11, v25
	s_waitcnt lgkmcnt(2)
	global_store_dwordx4 v[7:8], v[13:16], off
	s_waitcnt lgkmcnt(1)
	global_store_dwordx4 v[2:3], v[17:20], off
	v_add_co_ci_u32_e32 v26, vcc_lo, v12, v26, vcc_lo
	ds_read_b128 v[13:16], v1 offset:144
	v_lshlrev_b64 v[2:3], 4, v[5:6]
	v_add_nc_u32_e32 v5, s2, v5
	s_waitcnt lgkmcnt(1)
	global_store_dwordx4 v[25:26], v[21:24], off
	v_add_co_u32 v7, vcc_lo, v11, v27
	ds_read_b128 v[17:20], v1 offset:160
	ds_read_b128 v[21:24], v1 offset:176
	v_lshlrev_b64 v[29:30], 4, v[5:6]
	v_add_co_ci_u32_e32 v8, vcc_lo, v12, v28, vcc_lo
	ds_read_b128 v[25:28], v1 offset:192
	v_add_co_u32 v2, vcc_lo, v11, v2
	v_add_nc_u32_e32 v5, s2, v5
	v_add_co_ci_u32_e32 v3, vcc_lo, v12, v3, vcc_lo
	v_add_co_u32 v35, vcc_lo, v11, v29
	v_add_co_ci_u32_e32 v36, vcc_lo, v12, v30, vcc_lo
	ds_read_b128 v[29:32], v1 offset:208
	v_lshlrev_b64 v[33:34], 4, v[5:6]
	v_add_nc_u32_e32 v5, s2, v5
	s_waitcnt lgkmcnt(4)
	global_store_dwordx4 v[7:8], v[13:16], off
	v_lshlrev_b64 v[7:8], 4, v[5:6]
	v_add_co_u32 v33, vcc_lo, v11, v33
	v_add_co_ci_u32_e32 v34, vcc_lo, v12, v34, vcc_lo
	v_add_nc_u32_e32 v5, s2, v5
	s_waitcnt lgkmcnt(3)
	global_store_dwordx4 v[2:3], v[17:20], off
	s_waitcnt lgkmcnt(2)
	global_store_dwordx4 v[35:36], v[21:24], off
	;; [unrolled: 2-line block ×3, first 2 shown]
	v_add_co_u32 v2, vcc_lo, v11, v7
	v_add_co_ci_u32_e32 v3, vcc_lo, v12, v8, vcc_lo
	v_lshlrev_b64 v[7:8], 4, v[5:6]
	v_add_nc_u32_e32 v5, s2, v5
	ds_read_b128 v[13:16], v1 offset:224
	ds_read_b128 v[17:20], v1 offset:240
	;; [unrolled: 1-line block ×3, first 2 shown]
	s_waitcnt lgkmcnt(3)
	global_store_dwordx4 v[2:3], v[29:32], off
	v_lshlrev_b64 v[2:3], 4, v[5:6]
	v_add_nc_u32_e32 v5, s2, v5
	v_add_co_u32 v7, vcc_lo, v11, v7
	v_add_co_ci_u32_e32 v8, vcc_lo, v12, v8, vcc_lo
	v_lshlrev_b64 v[25:26], 4, v[5:6]
	v_add_co_u32 v2, vcc_lo, v11, v2
	v_add_co_ci_u32_e32 v3, vcc_lo, v12, v3, vcc_lo
	s_waitcnt lgkmcnt(2)
	global_store_dwordx4 v[7:8], v[13:16], off
	s_waitcnt lgkmcnt(1)
	global_store_dwordx4 v[2:3], v[17:20], off
	v_add_co_u32 v25, vcc_lo, v11, v25
	v_add_co_ci_u32_e32 v26, vcc_lo, v12, v26, vcc_lo
                                        ; implicit-def: $vgpr3_vgpr4
                                        ; implicit-def: $vgpr7_vgpr8
	s_waitcnt lgkmcnt(0)
	global_store_dwordx4 v[25:26], v[21:24], off
	v_cmpx_gt_u32_e32 0x78, v0
	s_cbranch_execz .LBB0_9
; %bb.8:
	ds_read_b128 v[1:4], v1 offset:272
	v_add_nc_u32_e32 v5, s2, v5
	s_mov_b32 s10, exec_lo
	v_lshlrev_b64 v[5:6], 4, v[5:6]
	v_add_co_u32 v7, vcc_lo, v11, v5
	v_add_co_ci_u32_e32 v8, vcc_lo, v12, v6, vcc_lo
	s_waitcnt lgkmcnt(0)
	global_store_dwordx2 v[7:8], v[1:2], off
.LBB0_9:
	s_or_b32 exec_lo, exec_lo, s11
	s_and_b32 vcc_lo, exec_lo, s3
	s_cbranch_vccnz .LBB0_11
	s_branch .LBB0_16
.LBB0_10:
                                        ; implicit-def: $vgpr3_vgpr4
                                        ; implicit-def: $vgpr7_vgpr8
	s_cbranch_execz .LBB0_16
.LBB0_11:
	v_add_nc_u32_e32 v1, s1, v10
	s_mov_b32 s1, exec_lo
                                        ; implicit-def: $vgpr3_vgpr4
                                        ; implicit-def: $vgpr7_vgpr8
	v_cmpx_gt_u32_e64 s0, v1
	s_cbranch_execz .LBB0_15
; %bb.12:
	v_mad_u64_u32 v[2:3], null, s8, v10, 0
	v_mul_lo_u32 v5, v9, s2
	v_mov_b32_e32 v6, 0
	s_lshl_b64 s[6:7], s[6:7], 4
	s_add_u32 s3, s4, s6
	s_addc_u32 s4, s5, s7
	v_mov_b32_e32 v1, v3
	v_lshlrev_b64 v[7:8], 4, v[5:6]
	v_add_nc_u32_e32 v5, s2, v5
	v_mad_u64_u32 v[3:4], null, s9, v10, v[1:2]
	v_mad_i32_i24 v1, 0x120, v10, 0
	v_lshlrev_b64 v[27:28], 4, v[5:6]
	v_add_nc_u32_e32 v5, s2, v5
	v_lshl_add_u32 v4, v9, 4, v1
	v_lshlrev_b64 v[2:3], 4, v[2:3]
	v_lshlrev_b64 v[31:32], 4, v[5:6]
	ds_read_b128 v[11:14], v4
	ds_read_b128 v[15:18], v4 offset:16
	ds_read_b128 v[19:22], v4 offset:32
	;; [unrolled: 1-line block ×3, first 2 shown]
	v_add_nc_u32_e32 v5, s2, v5
	v_add_co_u32 v9, vcc_lo, s3, v2
	v_add_co_ci_u32_e32 v10, vcc_lo, s4, v3, vcc_lo
	v_lshlrev_b64 v[33:34], 4, v[5:6]
	v_add_co_u32 v2, vcc_lo, v9, v7
	v_add_co_ci_u32_e32 v3, vcc_lo, v10, v8, vcc_lo
	v_add_co_u32 v7, vcc_lo, v9, v27
	v_add_co_ci_u32_e32 v8, vcc_lo, v10, v28, vcc_lo
	ds_read_b128 v[27:30], v4 offset:64
	v_add_nc_u32_e32 v5, s2, v5
	s_waitcnt lgkmcnt(4)
	global_store_dwordx4 v[2:3], v[11:14], off
	s_waitcnt lgkmcnt(3)
	global_store_dwordx4 v[7:8], v[15:18], off
	v_add_co_u32 v2, vcc_lo, v9, v31
	v_lshlrev_b64 v[7:8], 4, v[5:6]
	v_add_co_ci_u32_e32 v3, vcc_lo, v10, v32, vcc_lo
	v_add_co_u32 v11, vcc_lo, v9, v33
	v_add_co_ci_u32_e32 v12, vcc_lo, v10, v34, vcc_lo
	v_add_co_u32 v7, vcc_lo, v9, v7
	v_add_nc_u32_e32 v5, s2, v5
	v_add_co_ci_u32_e32 v8, vcc_lo, v10, v8, vcc_lo
	s_waitcnt lgkmcnt(2)
	global_store_dwordx4 v[2:3], v[19:22], off
	s_waitcnt lgkmcnt(1)
	global_store_dwordx4 v[11:12], v[23:26], off
	ds_read_b128 v[11:14], v4 offset:80
	v_lshlrev_b64 v[31:32], 4, v[5:6]
	v_add_nc_u32_e32 v5, s2, v5
	s_waitcnt lgkmcnt(1)
	global_store_dwordx4 v[7:8], v[27:30], off
	ds_read_b128 v[15:18], v4 offset:96
	ds_read_b128 v[19:22], v4 offset:112
	s_mul_hi_u32 s3, s0, 0x88888889
	v_lshlrev_b64 v[2:3], 4, v[5:6]
	v_add_nc_u32_e32 v5, s2, v5
	v_add_co_u32 v7, vcc_lo, v9, v31
	v_add_co_ci_u32_e32 v8, vcc_lo, v10, v32, vcc_lo
	v_lshlrev_b64 v[23:24], 4, v[5:6]
	v_add_co_u32 v2, vcc_lo, v9, v2
	v_add_co_ci_u32_e32 v3, vcc_lo, v10, v3, vcc_lo
	v_add_nc_u32_e32 v5, s2, v5
	v_add_co_u32 v23, vcc_lo, v9, v23
	v_add_co_ci_u32_e32 v24, vcc_lo, v10, v24, vcc_lo
	s_waitcnt lgkmcnt(2)
	global_store_dwordx4 v[7:8], v[11:14], off
	s_waitcnt lgkmcnt(1)
	global_store_dwordx4 v[2:3], v[15:18], off
	;; [unrolled: 2-line block ×3, first 2 shown]
	v_lshlrev_b64 v[7:8], 4, v[5:6]
	v_add_nc_u32_e32 v5, s2, v5
	ds_read_b128 v[11:14], v4 offset:128
	ds_read_b128 v[15:18], v4 offset:144
	;; [unrolled: 1-line block ×3, first 2 shown]
	s_lshr_b32 s3, s3, 6
	v_lshlrev_b64 v[2:3], 4, v[5:6]
	v_add_nc_u32_e32 v5, s2, v5
	v_add_co_u32 v7, vcc_lo, v9, v7
	v_add_co_ci_u32_e32 v8, vcc_lo, v10, v8, vcc_lo
	v_lshlrev_b64 v[23:24], 4, v[5:6]
	v_add_co_u32 v2, vcc_lo, v9, v2
	v_add_co_ci_u32_e32 v3, vcc_lo, v10, v3, vcc_lo
	v_add_nc_u32_e32 v5, s2, v5
	v_add_co_u32 v23, vcc_lo, v9, v23
	v_add_co_ci_u32_e32 v24, vcc_lo, v10, v24, vcc_lo
	s_waitcnt lgkmcnt(2)
	global_store_dwordx4 v[7:8], v[11:14], off
	s_waitcnt lgkmcnt(1)
	global_store_dwordx4 v[2:3], v[15:18], off
	ds_read_b128 v[11:14], v4 offset:176
	v_lshlrev_b64 v[25:26], 4, v[5:6]
	v_add_nc_u32_e32 v5, s2, v5
	s_waitcnt lgkmcnt(1)
	global_store_dwordx4 v[23:24], v[19:22], off
	ds_read_b128 v[15:18], v4 offset:192
	ds_read_b128 v[19:22], v4 offset:208
	s_mulk_i32 s3, 0x78
	v_lshlrev_b64 v[2:3], 4, v[5:6]
	v_add_nc_u32_e32 v5, s2, v5
	v_add_co_u32 v7, vcc_lo, v9, v25
	v_add_co_ci_u32_e32 v8, vcc_lo, v10, v26, vcc_lo
	v_lshlrev_b64 v[23:24], 4, v[5:6]
	v_add_co_u32 v2, vcc_lo, v9, v2
	v_add_nc_u32_e32 v5, s2, v5
	v_add_co_ci_u32_e32 v3, vcc_lo, v10, v3, vcc_lo
	v_add_co_u32 v23, vcc_lo, v9, v23
	v_add_co_ci_u32_e32 v24, vcc_lo, v10, v24, vcc_lo
	s_waitcnt lgkmcnt(2)
	global_store_dwordx4 v[7:8], v[11:14], off
	v_lshlrev_b64 v[7:8], 4, v[5:6]
	v_add_nc_u32_e32 v5, s2, v5
	s_waitcnt lgkmcnt(1)
	global_store_dwordx4 v[2:3], v[15:18], off
	s_waitcnt lgkmcnt(0)
	global_store_dwordx4 v[23:24], v[19:22], off
	ds_read_b128 v[11:14], v4 offset:224
	ds_read_b128 v[15:18], v4 offset:240
	;; [unrolled: 1-line block ×3, first 2 shown]
	s_sub_i32 s0, s0, s3
	v_lshlrev_b64 v[2:3], 4, v[5:6]
	v_add_nc_u32_e32 v5, s2, v5
	v_add_co_u32 v7, vcc_lo, v9, v7
	v_add_co_ci_u32_e32 v8, vcc_lo, v10, v8, vcc_lo
	v_lshlrev_b64 v[23:24], 4, v[5:6]
	v_add_co_u32 v2, vcc_lo, v9, v2
	v_add_co_ci_u32_e32 v3, vcc_lo, v10, v3, vcc_lo
	s_mov_b32 s3, s10
	v_add_co_u32 v23, vcc_lo, v9, v23
	v_add_co_ci_u32_e32 v24, vcc_lo, v10, v24, vcc_lo
	v_cmp_gt_u32_e32 vcc_lo, s0, v0
	s_waitcnt lgkmcnt(2)
	global_store_dwordx4 v[7:8], v[11:14], off
	s_waitcnt lgkmcnt(1)
	global_store_dwordx4 v[2:3], v[15:18], off
                                        ; implicit-def: $vgpr3_vgpr4
                                        ; implicit-def: $vgpr7_vgpr8
	s_waitcnt lgkmcnt(0)
	global_store_dwordx4 v[23:24], v[19:22], off
	s_and_saveexec_b32 s0, vcc_lo
	s_cbranch_execz .LBB0_14
; %bb.13:
	ds_read_b128 v[1:4], v1 offset:272
	v_add_nc_u32_e32 v5, s2, v5
	s_or_b32 s3, s10, exec_lo
	v_lshlrev_b64 v[5:6], 4, v[5:6]
	v_add_co_u32 v7, vcc_lo, v9, v5
	v_add_co_ci_u32_e32 v8, vcc_lo, v10, v6, vcc_lo
	s_waitcnt lgkmcnt(0)
	global_store_dwordx2 v[7:8], v[1:2], off
.LBB0_14:
	s_or_b32 exec_lo, exec_lo, s0
	s_andn2_b32 s0, s10, exec_lo
	s_and_b32 s2, s3, exec_lo
	s_or_b32 s10, s0, s2
.LBB0_15:
	s_or_b32 exec_lo, exec_lo, s1
.LBB0_16:
	s_and_saveexec_b32 s0, s10
	s_cbranch_execnz .LBB0_18
; %bb.17:
	s_endpgm
.LBB0_18:
	global_store_dwordx2 v[7:8], v[3:4], off offset:8
	s_endpgm
	.section	.rodata,"a",@progbits
	.p2align	6, 0x0
	.amdhsa_kernel fft_rtc_fwd_len17_factors_17_wgs_120_tpt_1_dp_op_CI_CI_sbrc_erc_z_xy_unaligned
		.amdhsa_group_segment_fixed_size 0
		.amdhsa_private_segment_fixed_size 0
		.amdhsa_kernarg_size 104
		.amdhsa_user_sgpr_count 6
		.amdhsa_user_sgpr_private_segment_buffer 1
		.amdhsa_user_sgpr_dispatch_ptr 0
		.amdhsa_user_sgpr_queue_ptr 0
		.amdhsa_user_sgpr_kernarg_segment_ptr 1
		.amdhsa_user_sgpr_dispatch_id 0
		.amdhsa_user_sgpr_flat_scratch_init 0
		.amdhsa_user_sgpr_private_segment_size 0
		.amdhsa_wavefront_size32 1
		.amdhsa_uses_dynamic_stack 0
		.amdhsa_system_sgpr_private_segment_wavefront_offset 0
		.amdhsa_system_sgpr_workgroup_id_x 1
		.amdhsa_system_sgpr_workgroup_id_y 0
		.amdhsa_system_sgpr_workgroup_id_z 0
		.amdhsa_system_sgpr_workgroup_info 0
		.amdhsa_system_vgpr_workitem_id 0
		.amdhsa_next_free_vgpr 176
		.amdhsa_next_free_sgpr 57
		.amdhsa_reserve_vcc 1
		.amdhsa_reserve_flat_scratch 0
		.amdhsa_float_round_mode_32 0
		.amdhsa_float_round_mode_16_64 0
		.amdhsa_float_denorm_mode_32 3
		.amdhsa_float_denorm_mode_16_64 3
		.amdhsa_dx10_clamp 1
		.amdhsa_ieee_mode 1
		.amdhsa_fp16_overflow 0
		.amdhsa_workgroup_processor_mode 1
		.amdhsa_memory_ordered 1
		.amdhsa_forward_progress 0
		.amdhsa_shared_vgpr_count 0
		.amdhsa_exception_fp_ieee_invalid_op 0
		.amdhsa_exception_fp_denorm_src 0
		.amdhsa_exception_fp_ieee_div_zero 0
		.amdhsa_exception_fp_ieee_overflow 0
		.amdhsa_exception_fp_ieee_underflow 0
		.amdhsa_exception_fp_ieee_inexact 0
		.amdhsa_exception_int_div_zero 0
	.end_amdhsa_kernel
	.text
.Lfunc_end0:
	.size	fft_rtc_fwd_len17_factors_17_wgs_120_tpt_1_dp_op_CI_CI_sbrc_erc_z_xy_unaligned, .Lfunc_end0-fft_rtc_fwd_len17_factors_17_wgs_120_tpt_1_dp_op_CI_CI_sbrc_erc_z_xy_unaligned
                                        ; -- End function
	.section	.AMDGPU.csdata,"",@progbits
; Kernel info:
; codeLenInByte = 11748
; NumSgprs: 59
; NumVgprs: 176
; ScratchSize: 0
; MemoryBound: 0
; FloatMode: 240
; IeeeMode: 1
; LDSByteSize: 0 bytes/workgroup (compile time only)
; SGPRBlocks: 7
; VGPRBlocks: 21
; NumSGPRsForWavesPerEU: 59
; NumVGPRsForWavesPerEU: 176
; Occupancy: 5
; WaveLimiterHint : 1
; COMPUTE_PGM_RSRC2:SCRATCH_EN: 0
; COMPUTE_PGM_RSRC2:USER_SGPR: 6
; COMPUTE_PGM_RSRC2:TRAP_HANDLER: 0
; COMPUTE_PGM_RSRC2:TGID_X_EN: 1
; COMPUTE_PGM_RSRC2:TGID_Y_EN: 0
; COMPUTE_PGM_RSRC2:TGID_Z_EN: 0
; COMPUTE_PGM_RSRC2:TIDIG_COMP_CNT: 0
	.text
	.p2alignl 6, 3214868480
	.fill 48, 4, 3214868480
	.type	__hip_cuid_2f0b4a1abab42da6,@object ; @__hip_cuid_2f0b4a1abab42da6
	.section	.bss,"aw",@nobits
	.globl	__hip_cuid_2f0b4a1abab42da6
__hip_cuid_2f0b4a1abab42da6:
	.byte	0                               ; 0x0
	.size	__hip_cuid_2f0b4a1abab42da6, 1

	.ident	"AMD clang version 19.0.0git (https://github.com/RadeonOpenCompute/llvm-project roc-6.4.0 25133 c7fe45cf4b819c5991fe208aaa96edf142730f1d)"
	.section	".note.GNU-stack","",@progbits
	.addrsig
	.addrsig_sym __hip_cuid_2f0b4a1abab42da6
	.amdgpu_metadata
---
amdhsa.kernels:
  - .args:
      - .actual_access:  read_only
        .address_space:  global
        .offset:         0
        .size:           8
        .value_kind:     global_buffer
      - .offset:         8
        .size:           8
        .value_kind:     by_value
      - .actual_access:  read_only
        .address_space:  global
        .offset:         16
        .size:           8
        .value_kind:     global_buffer
      - .actual_access:  read_only
        .address_space:  global
        .offset:         24
        .size:           8
        .value_kind:     global_buffer
      - .actual_access:  read_only
        .address_space:  global
        .offset:         32
        .size:           8
        .value_kind:     global_buffer
      - .offset:         40
        .size:           8
        .value_kind:     by_value
      - .actual_access:  read_only
        .address_space:  global
        .offset:         48
        .size:           8
        .value_kind:     global_buffer
      - .actual_access:  read_only
        .address_space:  global
        .offset:         56
        .size:           8
        .value_kind:     global_buffer
      - .offset:         64
        .size:           4
        .value_kind:     by_value
      - .actual_access:  read_only
        .address_space:  global
        .offset:         72
        .size:           8
        .value_kind:     global_buffer
      - .actual_access:  read_only
        .address_space:  global
        .offset:         80
        .size:           8
        .value_kind:     global_buffer
      - .actual_access:  read_only
        .address_space:  global
        .offset:         88
        .size:           8
        .value_kind:     global_buffer
      - .actual_access:  write_only
        .address_space:  global
        .offset:         96
        .size:           8
        .value_kind:     global_buffer
    .group_segment_fixed_size: 0
    .kernarg_segment_align: 8
    .kernarg_segment_size: 104
    .language:       OpenCL C
    .language_version:
      - 2
      - 0
    .max_flat_workgroup_size: 120
    .name:           fft_rtc_fwd_len17_factors_17_wgs_120_tpt_1_dp_op_CI_CI_sbrc_erc_z_xy_unaligned
    .private_segment_fixed_size: 0
    .sgpr_count:     59
    .sgpr_spill_count: 0
    .symbol:         fft_rtc_fwd_len17_factors_17_wgs_120_tpt_1_dp_op_CI_CI_sbrc_erc_z_xy_unaligned.kd
    .uniform_work_group_size: 1
    .uses_dynamic_stack: false
    .vgpr_count:     176
    .vgpr_spill_count: 0
    .wavefront_size: 32
    .workgroup_processor_mode: 1
amdhsa.target:   amdgcn-amd-amdhsa--gfx1030
amdhsa.version:
  - 1
  - 2
...

	.end_amdgpu_metadata
